;; amdgpu-corpus repo=ROCm/rocFFT kind=compiled arch=gfx1030 opt=O3
	.text
	.amdgcn_target "amdgcn-amd-amdhsa--gfx1030"
	.amdhsa_code_object_version 6
	.protected	bluestein_single_fwd_len17_dim1_sp_op_CI_CI ; -- Begin function bluestein_single_fwd_len17_dim1_sp_op_CI_CI
	.globl	bluestein_single_fwd_len17_dim1_sp_op_CI_CI
	.p2align	8
	.type	bluestein_single_fwd_len17_dim1_sp_op_CI_CI,@function
bluestein_single_fwd_len17_dim1_sp_op_CI_CI: ; @bluestein_single_fwd_len17_dim1_sp_op_CI_CI
; %bb.0:
	s_load_dwordx4 s[0:3], s[4:5], 0x28
	v_mad_u64_u32 v[24:25], null, 0x78, s6, v[0:1]
	v_mov_b32_e32 v25, 0
	s_waitcnt lgkmcnt(0)
	v_cmp_gt_u64_e32 vcc_lo, s[0:1], v[24:25]
	s_and_saveexec_b32 s0, vcc_lo
	s_cbranch_execz .LBB0_2
; %bb.1:
	s_load_dwordx4 s[24:27], s[4:5], 0x18
	s_waitcnt lgkmcnt(0)
	s_load_dwordx4 s[8:11], s[24:25], 0x0
	s_waitcnt lgkmcnt(0)
	v_mad_u64_u32 v[0:1], null, s10, v24, 0
	s_lshl_b64 s[6:7], s[8:9], 3
	s_lshl_b64 s[12:13], s[8:9], 5
	;; [unrolled: 1-line block ×4, first 2 shown]
	v_mad_u64_u32 v[1:2], null, s11, v24, v[1:2]
	s_lshl_b64 s[10:11], s[8:9], 4
	v_lshlrev_b64 v[0:1], 3, v[0:1]
	v_add_co_u32 v0, vcc_lo, s2, v0
	v_add_co_ci_u32_e32 v1, vcc_lo, s3, v1, vcc_lo
	v_add_co_u32 v2, vcc_lo, v0, s6
	v_mad_u64_u32 v[12:13], null, s8, 24, v[0:1]
	v_mad_u64_u32 v[14:15], null, s8, 40, v[0:1]
	;; [unrolled: 1-line block ×3, first 2 shown]
	v_add_co_u32 v4, s0, v0, s10
	v_mad_u64_u32 v[18:19], null, s8, 56, v[0:1]
	v_add_co_u32 v6, s1, v0, s12
	v_add_co_ci_u32_e32 v3, vcc_lo, s7, v1, vcc_lo
	v_mad_u64_u32 v[20:21], null, 0x48, s8, v[0:1]
	v_add_co_u32 v8, s2, v0, s14
	v_add_co_ci_u32_e64 v5, vcc_lo, s11, v1, s0
	v_mad_u64_u32 v[22:23], null, 0x50, s8, v[0:1]
	v_add_co_u32 v10, s3, v0, s16
	v_add_co_ci_u32_e64 v7, vcc_lo, s13, v1, s1
	v_mad_u64_u32 v[25:26], null, 0x58, s8, v[0:1]
	v_add_co_ci_u32_e64 v9, vcc_lo, s15, v1, s2
	v_mad_u64_u32 v[27:28], null, 0x60, s8, v[0:1]
	;; [unrolled: 2-line block ×3, first 2 shown]
	v_mad_u64_u32 v[31:32], null, 0x70, s8, v[0:1]
	v_mad_u64_u32 v[33:34], null, 0x78, s8, v[0:1]
	s_clause 0x5
	global_load_dwordx2 v[35:36], v[0:1], off
	global_load_dwordx2 v[0:1], v[2:3], off
	;; [unrolled: 1-line block ×6, first 2 shown]
	v_mov_b32_e32 v10, v13
	v_mov_b32_e32 v11, v15
	;; [unrolled: 1-line block ×7, first 2 shown]
	v_mad_u64_u32 v[37:38], null, s9, 24, v[10:11]
	v_mov_b32_e32 v23, v28
	v_mad_u64_u32 v[38:39], null, s9, 48, v[13:14]
	v_mad_u64_u32 v[39:40], null, s9, 56, v[15:16]
	;; [unrolled: 1-line block ×4, first 2 shown]
	v_mov_b32_e32 v26, v30
	v_mad_u64_u32 v[41:42], null, 0x50, s9, v[19:20]
	v_mov_b32_e32 v28, v32
	v_mad_u64_u32 v[42:43], null, 0x58, s9, v[21:22]
	;; [unrolled: 2-line block ×3, first 2 shown]
	v_mad_u64_u32 v[44:45], null, 0x68, s9, v[26:27]
	v_mad_u64_u32 v[45:46], null, 0x70, s9, v[28:29]
	v_mov_b32_e32 v15, v10
	v_mad_u64_u32 v[10:11], null, 0x78, s9, v[30:31]
	v_mov_b32_e32 v13, v37
	v_mov_b32_e32 v26, v42
	v_mov_b32_e32 v17, v38
	v_mov_b32_e32 v19, v39
	v_mov_b32_e32 v28, v43
	v_mov_b32_e32 v21, v40
	v_mov_b32_e32 v23, v41
	s_clause 0x1
	global_load_dwordx2 v[11:12], v[12:13], off
	global_load_dwordx2 v[25:26], v[25:26], off
	v_mov_b32_e32 v30, v44
	s_clause 0x1
	global_load_dwordx2 v[13:14], v[14:15], off
	global_load_dwordx2 v[37:38], v[27:28], off
	v_mov_b32_e32 v32, v45
	;; [unrolled: 4-line block ×3, first 2 shown]
	s_clause 0x4
	global_load_dwordx2 v[19:20], v[20:21], off
	global_load_dwordx2 v[21:22], v[22:23], off
	;; [unrolled: 1-line block ×5, first 2 shown]
	s_load_dwordx2 s[6:7], s[4:5], 0x0
	v_mul_hi_u32 v10, 0x88888889, v24
	v_lshrrev_b32_e32 v10, 6, v10
	v_mul_lo_u32 v10, 0x78, v10
	s_waitcnt lgkmcnt(0)
	s_clause 0x2
	s_load_dwordx16 s[52:67], s[6:7], 0x0
	s_load_dwordx16 s[8:23], s[6:7], 0x40
	;; [unrolled: 1-line block ×3, first 2 shown]
	v_sub_nc_u32_e32 v10, v24, v10
	s_load_dwordx4 s[0:3], s[26:27], 0x0
	v_mul_u32_u24_e32 v27, 0x88, v10
	s_waitcnt vmcnt(15) lgkmcnt(0)
	v_mul_f32_e32 v39, s55, v1
	v_mul_f32_e32 v10, s55, v0
	s_waitcnt vmcnt(14)
	v_mul_f32_e32 v41, s57, v3
	v_mul_f32_e32 v34, s53, v36
	;; [unrolled: 1-line block ×3, first 2 shown]
	s_waitcnt vmcnt(11)
	v_mul_f32_e32 v47, s37, v9
	v_mul_f32_e32 v44, s37, v8
	v_mul_f32_e32 v43, s61, v5
	v_fmac_f32_e32 v34, s52, v35
	v_fma_f32 v35, v36, s52, -v23
	v_mul_f32_e32 v23, s57, v2
	v_mul_f32_e32 v36, s61, v4
	;; [unrolled: 1-line block ×4, first 2 shown]
	v_fmac_f32_e32 v39, s54, v0
	v_fma_f32 v40, v1, s54, -v10
	v_fmac_f32_e32 v47, s36, v8
	v_fma_f32 v48, v9, s36, -v44
	;; [unrolled: 2-line block ×5, first 2 shown]
	ds_write2_b64 v27, v[34:35], v[39:40] offset1:1
	ds_write_b64 v27, v[47:48] offset:128
	s_waitcnt vmcnt(10)
	v_mul_f32_e32 v0, s59, v12
	v_mul_f32_e32 v1, s59, v11
	s_waitcnt vmcnt(9)
	v_mul_f32_e32 v34, s15, v26
	s_waitcnt vmcnt(8)
	v_mul_f32_e32 v2, s63, v14
	v_mul_f32_e32 v3, s63, v13
	;; [unrolled: 1-line block ×3, first 2 shown]
	s_waitcnt vmcnt(6)
	v_mul_f32_e32 v4, s65, v16
	v_mul_f32_e32 v5, s65, v15
	s_waitcnt vmcnt(5)
	v_mul_f32_e32 v6, s67, v18
	v_mul_f32_e32 v7, s67, v17
	s_waitcnt vmcnt(4)
	v_mul_f32_e32 v8, s11, v20
	v_mul_f32_e32 v9, s11, v19
	s_waitcnt vmcnt(3)
	v_mul_f32_e32 v10, s13, v22
	v_mul_f32_e32 v23, s13, v21
	v_mul_f32_e32 v36, s17, v38
	v_mul_f32_e32 v40, s17, v37
	s_waitcnt vmcnt(2)
	v_mul_f32_e32 v39, s19, v29
	v_mul_f32_e32 v48, s19, v28
	s_waitcnt vmcnt(1)
	;; [unrolled: 3-line block ×3, first 2 shown]
	v_mul_f32_e32 v49, s23, v33
	v_mul_f32_e32 v51, s23, v32
	v_fmac_f32_e32 v0, s58, v11
	v_fma_f32 v1, v12, s58, -v1
	v_fmac_f32_e32 v2, s62, v13
	v_fma_f32 v3, v14, s62, -v3
	v_fmac_f32_e32 v4, s64, v15
	v_fma_f32 v5, v16, s64, -v5
	v_fmac_f32_e32 v6, s66, v17
	v_fma_f32 v7, v18, s66, -v7
	v_fmac_f32_e32 v8, s10, v19
	v_fma_f32 v9, v20, s10, -v9
	v_fmac_f32_e32 v10, s12, v21
	v_fma_f32 v11, v22, s12, -v23
	v_fmac_f32_e32 v34, s14, v25
	v_fma_f32 v35, v26, s14, -v35
	v_fmac_f32_e32 v36, s16, v37
	v_fma_f32 v37, v38, s16, -v40
	v_fmac_f32_e32 v39, s18, v28
	v_fma_f32 v40, v29, s18, -v48
	v_fmac_f32_e32 v47, s20, v30
	v_fma_f32 v48, v31, s20, -v50
	v_fmac_f32_e32 v49, s22, v32
	v_fma_f32 v50, v33, s22, -v51
	ds_write2_b64 v27, v[41:42], v[0:1] offset0:2 offset1:3
	ds_write2_b64 v27, v[43:44], v[2:3] offset0:4 offset1:5
	;; [unrolled: 1-line block ×7, first 2 shown]
	s_waitcnt lgkmcnt(0)
	s_barrier
	buffer_gl0_inv
	ds_read2_b64 v[8:11], v27 offset1:1
	ds_read_b64 v[25:26], v27 offset:128
	ds_read2_b64 v[16:19], v27 offset0:2 offset1:3
	ds_read2_b64 v[12:15], v27 offset0:14 offset1:15
	;; [unrolled: 1-line block ×4, first 2 shown]
	s_waitcnt lgkmcnt(5)
	v_add_f32_e32 v20, v8, v10
	v_add_f32_e32 v21, v9, v11
	s_waitcnt lgkmcnt(4)
	v_add_f32_e32 v22, v25, v10
	v_add_f32_e32 v23, v26, v11
	v_sub_f32_e32 v10, v10, v25
	v_sub_f32_e32 v11, v11, v26
	s_waitcnt lgkmcnt(2)
	v_add_f32_e32 v28, v14, v16
	v_add_f32_e32 v29, v15, v17
	v_sub_f32_e32 v30, v16, v14
	v_sub_f32_e32 v31, v17, v15
	v_add_f32_e32 v16, v20, v16
	v_add_f32_e32 v17, v21, v17
	v_mul_f32_e32 v20, 0xbeb8f4ab, v11
	v_mul_f32_e32 v21, 0xbeb8f4ab, v10
	v_sub_f32_e32 v34, v18, v12
	v_sub_f32_e32 v35, v19, v13
	v_mul_f32_e32 v36, 0xbf2c7751, v11
	v_mul_f32_e32 v37, 0xbf2c7751, v10
	;; [unrolled: 1-line block ×16, first 2 shown]
	v_add_f32_e32 v76, v16, v18
	v_add_f32_e32 v77, v17, v19
	v_fma_f32 v16, 0x3f6eb680, v22, -v20
	v_fmamk_f32 v17, v23, 0x3f6eb680, v21
	v_add_f32_e32 v32, v12, v18
	v_add_f32_e32 v33, v13, v19
	v_mul_f32_e32 v50, 0xbf7ee86f, v31
	v_mul_f32_e32 v51, 0xbf7ee86f, v30
	;; [unrolled: 1-line block ×30, first 2 shown]
	v_fmac_f32_e32 v20, 0x3f6eb680, v22
	v_fma_f32 v18, 0x3f6eb680, v23, -v21
	v_fma_f32 v19, 0x3f3d2fb0, v22, -v36
	v_fmamk_f32 v21, v23, 0x3f3d2fb0, v37
	v_fmac_f32_e32 v36, 0x3f3d2fb0, v22
	v_fma_f32 v37, 0x3f3d2fb0, v23, -v37
	v_fma_f32 v78, 0x3ee437d1, v22, -v38
	v_fmamk_f32 v79, v23, 0x3ee437d1, v39
	;; [unrolled: 4-line block ×8, first 2 shown]
	v_add_f32_e32 v16, v8, v16
	v_add_f32_e32 v17, v9, v17
	v_fmac_f32_e32 v48, 0x3f3d2fb0, v28
	v_fma_f32 v49, 0x3f3d2fb0, v29, -v49
	v_fma_f32 v90, 0x3dbcf732, v28, -v50
	v_fmamk_f32 v91, v29, 0x3dbcf732, v51
	v_fmac_f32_e32 v50, 0x3dbcf732, v28
	v_fma_f32 v51, 0x3dbcf732, v29, -v51
	v_fma_f32 v92, 0xbf1a4643, v28, -v52
	v_fmamk_f32 v93, v29, 0xbf1a4643, v53
	;; [unrolled: 4-line block ×13, first 2 shown]
	v_fmac_f32_e32 v72, 0x3f6eb680, v32
	v_fma_f32 v73, 0x3f6eb680, v33, -v73
	v_add_f32_e32 v114, v9, v18
	v_add_f32_e32 v115, v8, v19
	v_fma_f32 v118, 0x3dbcf732, v32, -v74
	v_fmamk_f32 v119, v33, 0x3dbcf732, v75
	v_fmac_f32_e32 v74, 0x3dbcf732, v32
	v_fma_f32 v75, 0x3dbcf732, v33, -v75
	v_fma_f32 v120, 0xbf59a7d5, v32, -v35
	v_fmac_f32_e32 v35, 0xbf59a7d5, v32
	v_fmamk_f32 v32, v33, 0xbf59a7d5, v34
	v_fma_f32 v33, 0xbf59a7d5, v33, -v34
	v_add_f32_e32 v34, v22, v16
	v_add_f32_e32 v121, v23, v17
	ds_read2_b64 v[16:19], v27 offset0:6 offset1:7
	v_add_f32_e32 v37, v9, v37
	v_add_f32_e32 v79, v9, v79
	;; [unrolled: 1-line block ×28, first 2 shown]
	ds_read2_b64 v[8:11], v27 offset0:8 offset1:9
	v_add_f32_e32 v37, v51, v37
	v_add_f32_e32 v51, v93, v79
	;; [unrolled: 1-line block ×3, first 2 shown]
	s_waitcnt lgkmcnt(2)
	v_add_f32_e32 v52, v2, v4
	v_sub_f32_e32 v79, v4, v2
	v_add_f32_e32 v4, v76, v4
	v_add_f32_e32 v36, v50, v36
	;; [unrolled: 1-line block ×4, first 2 shown]
	v_sub_f32_e32 v53, v5, v3
	v_add_f32_e32 v78, v94, v80
	v_add_f32_e32 v80, v95, v81
	;; [unrolled: 1-line block ×7, first 2 shown]
	ds_read2_b64 v[20:23], v27 offset0:10 offset1:11
	v_add_f32_e32 v5, v5, v7
	s_waitcnt lgkmcnt(2)
	v_add_f32_e32 v4, v4, v16
	v_add_f32_e32 v40, v54, v40
	v_mul_f32_e32 v54, 0xbf7ee86f, v53
	v_add_f32_e32 v41, v55, v41
	v_add_f32_e32 v5, v5, v17
	;; [unrolled: 1-line block ×3, first 2 shown]
	v_mul_f32_e32 v55, 0xbf7ee86f, v79
	v_mul_f32_e32 v93, 0xbe3c28d5, v79
	v_add_f32_e32 v42, v56, v42
	v_add_f32_e32 v5, v5, v19
	s_waitcnt lgkmcnt(1)
	v_add_f32_e32 v4, v4, v8
	v_mul_f32_e32 v56, 0x3f763a35, v53
	v_add_f32_e32 v43, v57, v43
	v_mul_f32_e32 v57, 0x3f763a35, v79
	v_add_f32_e32 v5, v5, v9
	v_add_f32_e32 v4, v4, v10
	v_fma_f32 v94, 0x3dbcf732, v52, -v54
	v_fmac_f32_e32 v54, 0x3dbcf732, v52
	v_add_f32_e32 v31, v31, v116
	v_add_f32_e32 v5, v5, v11
	s_waitcnt lgkmcnt(0)
	v_add_f32_e32 v4, v4, v20
	v_add_f32_e32 v29, v29, v34
	;; [unrolled: 1-line block ×7, first 2 shown]
	v_mul_f32_e32 v92, 0xbe3c28d5, v53
	v_fmamk_f32 v95, v81, 0x3dbcf732, v55
	v_add_f32_e32 v5, v5, v23
	v_add_f32_e32 v4, v4, v0
	v_fma_f32 v76, 0xbf7ba420, v81, -v93
	v_add_f32_e32 v77, v100, v86
	v_fma_f32 v86, 0xbe8c1d8e, v52, -v56
	v_add_f32_e32 v5, v5, v1
	v_add_f32_e32 v2, v4, v2
	;; [unrolled: 1-line block ×11, first 2 shown]
	v_fmac_f32_e32 v56, 0xbe8c1d8e, v52
	v_fma_f32 v34, 0xbe8c1d8e, v81, -v57
	v_mul_f32_e32 v35, 0x3eb8f4ab, v79
	v_add_f32_e32 v82, v96, v82
	v_fma_f32 v55, 0x3dbcf732, v81, -v55
	v_add_f32_e32 v44, v58, v44
	v_fma_f32 v58, 0xbf7ba420, v52, -v92
	v_fmac_f32_e32 v92, 0xbf7ba420, v52
	v_add_f32_e32 v48, v63, v49
	v_add_f32_e32 v49, v104, v90
	;; [unrolled: 1-line block ×9, first 2 shown]
	v_mul_f32_e32 v33, 0x3eb8f4ab, v53
	v_add_f32_e32 v37, v56, v38
	v_add_f32_e32 v34, v34, v39
	v_mul_f32_e32 v38, 0xbf65296c, v53
	v_fmamk_f32 v39, v81, 0x3f6eb680, v35
	v_fma_f32 v35, 0x3f6eb680, v81, -v35
	v_add_f32_e32 v84, v98, v84
	v_add_f32_e32 v50, v106, v50
	;; [unrolled: 1-line block ×11, first 2 shown]
	v_fmamk_f32 v25, v81, 0xbe8c1d8e, v57
	v_fma_f32 v36, 0x3f6eb680, v52, -v33
	v_fmac_f32_e32 v33, 0x3f6eb680, v52
	v_fma_f32 v48, 0x3ee437d1, v52, -v38
	v_mul_f32_e32 v49, 0xbf65296c, v79
	v_add_f32_e32 v35, v35, v41
	v_mul_f32_e32 v41, 0xbf06c442, v53
	v_add_f32_e32 v45, v59, v45
	v_add_f32_e32 v42, v70, v42
	;; [unrolled: 1-line block ×9, first 2 shown]
	v_fmamk_f32 v48, v81, 0x3ee437d1, v49
	v_fmac_f32_e32 v38, 0x3ee437d1, v52
	v_fma_f32 v49, 0x3ee437d1, v81, -v49
	v_mul_f32_e32 v50, 0xbf06c442, v79
	v_fma_f32 v51, 0xbf59a7d5, v52, -v41
	v_add_f32_e32 v47, v61, v47
	v_add_f32_e32 v44, v72, v44
	;; [unrolled: 1-line block ×5, first 2 shown]
	v_fmamk_f32 v43, v81, 0xbf59a7d5, v50
	v_add_f32_e32 v49, v51, v67
	v_mul_f32_e32 v51, 0x3f4c4adb, v53
	v_fmac_f32_e32 v41, 0xbf59a7d5, v52
	v_fma_f32 v50, 0xbf59a7d5, v81, -v50
	v_mul_f32_e32 v54, 0x3f4c4adb, v79
	v_add_f32_e32 v46, v60, v46
	v_add_f32_e32 v60, v102, v88
	;; [unrolled: 1-line block ×4, first 2 shown]
	v_fma_f32 v55, 0xbf1a4643, v52, -v51
	v_add_f32_e32 v41, v41, v44
	v_add_f32_e32 v44, v50, v45
	v_mul_f32_e32 v45, 0x3f2c7751, v53
	v_fmamk_f32 v50, v81, 0xbf1a4643, v54
	v_fma_f32 v54, 0xbf1a4643, v81, -v54
	v_add_f32_e32 v61, v103, v89
	v_add_f32_e32 v46, v74, v46
	;; [unrolled: 1-line block ×4, first 2 shown]
	v_fmac_f32_e32 v51, 0xbf1a4643, v52
	v_fma_f32 v55, 0x3f3d2fb0, v52, -v45
	v_mul_f32_e32 v56, 0x3f2c7751, v79
	v_add_f32_e32 v47, v54, v47
	v_sub_f32_e32 v54, v7, v1
	v_fmac_f32_e32 v45, 0x3f3d2fb0, v52
	v_sub_f32_e32 v52, v6, v0
	v_add_f32_e32 v32, v32, v61
	v_add_f32_e32 v46, v51, v46
	;; [unrolled: 1-line block ×3, first 2 shown]
	v_fmamk_f32 v55, v81, 0x3f3d2fb0, v56
	v_add_f32_e32 v0, v0, v6
	v_mul_f32_e32 v6, 0xbf763a35, v54
	v_fma_f32 v56, 0x3f3d2fb0, v81, -v56
	v_add_f32_e32 v1, v1, v7
	v_mul_f32_e32 v7, 0xbf763a35, v52
	v_add_f32_e32 v32, v55, v32
	v_fma_f32 v55, 0xbe8c1d8e, v0, -v6
	v_add_f32_e32 v31, v45, v31
	v_add_f32_e32 v4, v56, v4
	v_fmamk_f32 v45, v1, 0xbe8c1d8e, v7
	v_mul_f32_e32 v56, 0x3f06c442, v54
	v_fmamk_f32 v59, v81, 0xbf7ba420, v93
	v_add_f32_e32 v62, v105, v91
	v_add_f32_e32 v5, v55, v5
	v_fmac_f32_e32 v6, 0xbe8c1d8e, v0
	v_fma_f32 v7, 0xbe8c1d8e, v1, -v7
	v_add_f32_e32 v28, v45, v28
	v_fma_f32 v45, 0xbf59a7d5, v0, -v56
	v_mul_f32_e32 v55, 0x3f06c442, v52
	v_add_f32_e32 v14, v59, v62
	v_add_f32_e32 v6, v6, v12
	;; [unrolled: 1-line block ×3, first 2 shown]
	v_mul_f32_e32 v12, 0x3f2c7751, v54
	v_add_f32_e32 v13, v45, v29
	v_fmamk_f32 v29, v1, 0xbf59a7d5, v55
	v_fma_f32 v45, 0xbf59a7d5, v1, -v55
	v_mul_f32_e32 v57, 0x3f2c7751, v52
	v_add_f32_e32 v63, v108, v78
	v_fmac_f32_e32 v56, 0xbf59a7d5, v0
	v_fma_f32 v55, 0x3f3d2fb0, v0, -v12
	v_add_f32_e32 v14, v29, v14
	v_add_f32_e32 v29, v45, v30
	v_fmamk_f32 v30, v1, 0x3f3d2fb0, v57
	v_mul_f32_e32 v45, 0xbf65296c, v54
	v_add_f32_e32 v64, v109, v80
	v_add_f32_e32 v36, v36, v63
	v_add_f32_e32 v15, v56, v15
	v_add_f32_e32 v26, v55, v26
	v_fmac_f32_e32 v12, 0x3f3d2fb0, v0
	v_fma_f32 v55, 0x3f3d2fb0, v1, -v57
	v_mul_f32_e32 v56, 0xbf65296c, v52
	v_add_f32_e32 v25, v30, v25
	v_fma_f32 v30, 0x3ee437d1, v0, -v45
	v_add_f32_e32 v83, v97, v83
	v_add_f32_e32 v39, v39, v64
	;; [unrolled: 1-line block ×4, first 2 shown]
	v_fmamk_f32 v37, v1, 0x3ee437d1, v56
	v_mul_f32_e32 v55, 0xbe3c28d5, v54
	v_add_f32_e32 v30, v30, v36
	v_fma_f32 v36, 0x3ee437d1, v1, -v56
	v_add_f32_e32 v85, v99, v85
	v_add_f32_e32 v66, v111, v83
	v_fmac_f32_e32 v45, 0x3ee437d1, v0
	v_add_f32_e32 v37, v37, v39
	v_fma_f32 v39, 0xbf7ba420, v0, -v55
	v_mul_f32_e32 v56, 0xbe3c28d5, v52
	v_add_f32_e32 v35, v36, v35
	v_mul_f32_e32 v36, 0x3f7ee86f, v54
	v_add_f32_e32 v87, v101, v87
	v_add_f32_e32 v68, v113, v85
	;; [unrolled: 1-line block ×5, first 2 shown]
	v_fmamk_f32 v40, v1, 0xbf7ba420, v56
	v_fmac_f32_e32 v55, 0xbf7ba420, v0
	v_fma_f32 v45, 0xbf7ba420, v1, -v56
	v_fma_f32 v56, 0x3dbcf732, v0, -v36
	v_mul_f32_e32 v57, 0x3f7ee86f, v52
	v_add_f32_e32 v70, v119, v87
	v_add_f32_e32 v43, v43, v68
	;; [unrolled: 1-line block ×6, first 2 shown]
	v_fmamk_f32 v48, v1, 0x3dbcf732, v57
	v_mul_f32_e32 v49, 0xbeb8f4ab, v54
	v_fmac_f32_e32 v36, 0x3dbcf732, v0
	v_mul_f32_e32 v55, 0xbeb8f4ab, v52
	v_add_f32_e32 v50, v50, v70
	v_add_f32_e32 v43, v48, v43
	v_fma_f32 v48, 0x3f6eb680, v0, -v49
	v_add_f32_e32 v36, v36, v41
	v_fmamk_f32 v41, v1, 0x3f6eb680, v55
	v_mul_f32_e32 v54, 0xbf4c4adb, v54
	v_fmac_f32_e32 v49, 0x3f6eb680, v0
	v_add_f32_e32 v48, v48, v53
	v_mul_f32_e32 v52, 0xbf4c4adb, v52
	v_add_f32_e32 v41, v41, v50
	v_fma_f32 v50, 0x3f6eb680, v1, -v55
	v_fma_f32 v53, 0xbf1a4643, v0, -v54
	v_add_f32_e32 v46, v49, v46
	v_sub_f32_e32 v49, v17, v23
	v_fma_f32 v56, 0x3dbcf732, v1, -v57
	v_add_f32_e32 v47, v50, v47
	v_add_f32_e32 v50, v53, v51
	v_add_f32_e32 v53, v22, v16
	v_mul_f32_e32 v55, 0xbf4c4adb, v49
	v_sub_f32_e32 v16, v16, v22
	v_fmamk_f32 v51, v1, 0xbf1a4643, v52
	v_fmac_f32_e32 v54, 0xbf1a4643, v0
	v_fma_f32 v0, 0xbf1a4643, v1, -v52
	v_add_f32_e32 v1, v23, v17
	v_fma_f32 v17, 0xbf1a4643, v53, -v55
	v_mul_f32_e32 v22, 0xbf4c4adb, v16
	v_add_f32_e32 v23, v51, v32
	v_add_f32_e32 v0, v0, v4
	v_mul_f32_e32 v32, 0x3f763a35, v16
	v_add_f32_e32 v4, v17, v5
	v_fmamk_f32 v5, v1, 0xbf1a4643, v22
	v_mul_f32_e32 v17, 0x3f763a35, v49
	v_fma_f32 v22, 0xbf1a4643, v1, -v22
	v_mul_f32_e32 v51, 0xbeb8f4ab, v49
	v_mul_f32_e32 v52, 0xbf06c442, v16
	v_add_f32_e32 v5, v5, v28
	v_fma_f32 v28, 0xbe8c1d8e, v53, -v17
	v_add_f32_e32 v7, v22, v7
	v_fmamk_f32 v22, v1, 0xbe8c1d8e, v32
	v_fmac_f32_e32 v17, 0xbe8c1d8e, v53
	v_add_f32_e32 v44, v56, v44
	v_add_f32_e32 v13, v28, v13
	v_fma_f32 v28, 0xbe8c1d8e, v1, -v32
	v_add_f32_e32 v14, v22, v14
	v_fma_f32 v22, 0x3f6eb680, v53, -v51
	v_mul_f32_e32 v32, 0xbeb8f4ab, v16
	v_add_f32_e32 v15, v17, v15
	v_add_f32_e32 v17, v28, v29
	v_mul_f32_e32 v28, 0xbf06c442, v49
	v_add_f32_e32 v22, v22, v26
	v_fmamk_f32 v26, v1, 0x3f6eb680, v32
	v_fma_f32 v29, 0x3f6eb680, v1, -v32
	v_fmac_f32_e32 v51, 0x3f6eb680, v53
	v_fma_f32 v32, 0xbf59a7d5, v53, -v28
	v_fmac_f32_e32 v28, 0xbf59a7d5, v53
	v_add_f32_e32 v25, v26, v25
	v_add_f32_e32 v26, v29, v34
	v_add_f32_e32 v12, v51, v12
	v_add_f32_e32 v29, v32, v30
	v_fmamk_f32 v30, v1, 0xbf59a7d5, v52
	v_mul_f32_e32 v32, 0x3f7ee86f, v49
	v_fma_f32 v34, 0xbf59a7d5, v1, -v52
	v_mul_f32_e32 v51, 0x3f7ee86f, v16
	v_add_f32_e32 v28, v28, v33
	v_add_f32_e32 v30, v30, v37
	v_fma_f32 v37, 0x3dbcf732, v53, -v32
	v_add_f32_e32 v33, v34, v35
	v_fmamk_f32 v34, v1, 0x3dbcf732, v51
	v_mul_f32_e32 v35, 0xbf2c7751, v49
	v_fmac_f32_e32 v32, 0x3dbcf732, v53
	v_add_f32_e32 v37, v37, v39
	v_fma_f32 v39, 0x3dbcf732, v1, -v51
	v_add_f32_e32 v34, v34, v40
	v_fma_f32 v40, 0x3f3d2fb0, v53, -v35
	v_mul_f32_e32 v51, 0xbf2c7751, v16
	v_add_f32_e32 v32, v32, v38
	v_add_f32_e32 v38, v39, v42
	v_mul_f32_e32 v39, 0xbe3c28d5, v49
	v_add_f32_e32 v40, v40, v45
	v_fmamk_f32 v42, v1, 0x3f3d2fb0, v51
	v_fma_f32 v45, 0x3f3d2fb0, v1, -v51
	v_mul_f32_e32 v52, 0xbe3c28d5, v16
	v_fma_f32 v51, 0xbf7ba420, v53, -v39
	v_fmac_f32_e32 v35, 0x3f3d2fb0, v53
	v_add_f32_e32 v42, v42, v43
	v_fmac_f32_e32 v39, 0xbf7ba420, v53
	v_mul_f32_e32 v16, 0x3f65296c, v16
	v_add_f32_e32 v43, v51, v48
	v_fma_f32 v48, 0xbf7ba420, v1, -v52
	v_add_f32_e32 v35, v35, v36
	v_add_f32_e32 v36, v45, v44
	v_fmamk_f32 v44, v1, 0xbf7ba420, v52
	v_mul_f32_e32 v45, 0x3f65296c, v49
	v_add_f32_e32 v39, v39, v46
	v_add_f32_e32 v46, v48, v47
	v_sub_f32_e32 v47, v19, v21
	v_add_f32_e32 v48, v20, v18
	v_sub_f32_e32 v18, v18, v20
	v_add_f32_e32 v31, v54, v31
	v_add_f32_e32 v41, v44, v41
	v_fma_f32 v44, 0x3ee437d1, v53, -v45
	v_fmamk_f32 v49, v1, 0x3ee437d1, v16
	v_mul_f32_e32 v20, 0xbf06c442, v47
	v_fmac_f32_e32 v45, 0x3ee437d1, v53
	v_fma_f32 v1, 0x3ee437d1, v1, -v16
	v_add_f32_e32 v16, v21, v19
	v_mul_f32_e32 v19, 0xbf06c442, v18
	v_fmac_f32_e32 v55, 0xbf1a4643, v53
	v_fma_f32 v21, 0xbf59a7d5, v48, -v20
	v_add_f32_e32 v31, v45, v31
	v_add_f32_e32 v0, v1, v0
	v_mul_f32_e32 v1, 0x3f65296c, v47
	v_fmamk_f32 v45, v16, 0xbf59a7d5, v19
	v_fma_f32 v19, 0xbf59a7d5, v16, -v19
	v_add_f32_e32 v6, v55, v6
	v_add_f32_e32 v4, v21, v4
	v_fmac_f32_e32 v20, 0xbf59a7d5, v48
	v_fma_f32 v21, 0x3ee437d1, v48, -v1
	v_add_f32_e32 v5, v45, v5
	v_mul_f32_e32 v45, 0x3f65296c, v18
	v_add_f32_e32 v7, v19, v7
	v_mul_f32_e32 v19, 0xbf7ee86f, v47
	v_add_f32_e32 v23, v49, v23
	v_add_f32_e32 v6, v20, v6
	;; [unrolled: 1-line block ×3, first 2 shown]
	v_fmamk_f32 v20, v16, 0x3ee437d1, v45
	v_fmac_f32_e32 v1, 0x3ee437d1, v48
	v_fma_f32 v21, 0x3ee437d1, v16, -v45
	v_mul_f32_e32 v45, 0xbf7ee86f, v18
	v_fma_f32 v49, 0x3dbcf732, v48, -v19
	v_add_f32_e32 v14, v20, v14
	v_add_f32_e32 v15, v1, v15
	;; [unrolled: 1-line block ×3, first 2 shown]
	v_fmamk_f32 v1, v16, 0x3dbcf732, v45
	v_add_f32_e32 v20, v49, v22
	v_mul_f32_e32 v21, 0x3f4c4adb, v47
	v_fmac_f32_e32 v19, 0x3dbcf732, v48
	v_fma_f32 v22, 0x3dbcf732, v16, -v45
	v_add_f32_e32 v25, v1, v25
	v_mul_f32_e32 v1, 0x3f4c4adb, v18
	v_fma_f32 v45, 0xbf1a4643, v48, -v21
	v_add_f32_e32 v12, v19, v12
	v_add_f32_e32 v19, v22, v26
	v_mul_f32_e32 v22, 0xbeb8f4ab, v47
	v_fmamk_f32 v26, v16, 0xbf1a4643, v1
	v_add_f32_e32 v29, v45, v29
	v_fmac_f32_e32 v21, 0xbf1a4643, v48
	v_fma_f32 v1, 0xbf1a4643, v16, -v1
	v_fma_f32 v45, 0x3f6eb680, v48, -v22
	v_add_f32_e32 v26, v26, v30
	v_mul_f32_e32 v30, 0xbeb8f4ab, v18
	v_add_f32_e32 v21, v21, v28
	v_add_f32_e32 v28, v1, v33
	;; [unrolled: 1-line block ×3, first 2 shown]
	v_mul_f32_e32 v1, 0xbe3c28d5, v47
	v_fmac_f32_e32 v22, 0x3f6eb680, v48
	v_mul_f32_e32 v45, 0xbe3c28d5, v18
	v_fmamk_f32 v37, v16, 0x3f6eb680, v30
	v_fma_f32 v30, 0x3f6eb680, v16, -v30
	v_fma_f32 v49, 0xbf7ba420, v48, -v1
	v_add_f32_e32 v22, v22, v32
	v_fmamk_f32 v32, v16, 0xbf7ba420, v45
	v_add_f32_e32 v34, v37, v34
	v_add_f32_e32 v30, v30, v38
	;; [unrolled: 1-line block ×3, first 2 shown]
	v_mul_f32_e32 v38, 0x3f2c7751, v47
	v_fmac_f32_e32 v1, 0xbf7ba420, v48
	v_fma_f32 v40, 0xbf7ba420, v16, -v45
	v_add_f32_e32 v32, v32, v42
	v_mul_f32_e32 v42, 0x3f2c7751, v18
	v_fma_f32 v45, 0x3f3d2fb0, v48, -v38
	v_add_f32_e32 v35, v1, v35
	v_add_f32_e32 v36, v40, v36
	v_mul_f32_e32 v1, 0xbf763a35, v47
	v_fmamk_f32 v40, v16, 0x3f3d2fb0, v42
	v_fmac_f32_e32 v38, 0x3f3d2fb0, v48
	v_fma_f32 v42, 0x3f3d2fb0, v16, -v42
	v_add_f32_e32 v44, v44, v50
	v_add_f32_e32 v43, v45, v43
	v_fma_f32 v45, 0xbe8c1d8e, v48, -v1
	v_mul_f32_e32 v18, 0xbf763a35, v18
	v_add_f32_e32 v38, v38, v39
	v_add_f32_e32 v39, v42, v46
	v_sub_f32_e32 v42, v9, v11
	v_add_f32_e32 v40, v40, v41
	v_add_f32_e32 v41, v45, v44
	v_sub_f32_e32 v45, v8, v10
	v_add_f32_e32 v46, v10, v8
	v_mul_f32_e32 v8, 0xbe3c28d5, v42
	v_fma_f32 v10, 0xbe8c1d8e, v16, -v18
	v_add_f32_e32 v47, v11, v9
	v_fmamk_f32 v44, v16, 0xbe8c1d8e, v18
	v_fmac_f32_e32 v1, 0xbe8c1d8e, v48
	v_fma_f32 v11, 0xbf7ba420, v46, -v8
	v_add_f32_e32 v49, v10, v0
	v_mul_f32_e32 v10, 0x3eb8f4ab, v42
	v_mul_f32_e32 v9, 0xbe3c28d5, v45
	v_fmac_f32_e32 v8, 0xbf7ba420, v46
	v_add_f32_e32 v0, v11, v4
	v_mul_f32_e32 v18, 0xbf06c442, v42
	v_fma_f32 v11, 0x3f6eb680, v46, -v10
	v_add_f32_e32 v48, v1, v31
	v_fmamk_f32 v1, v47, 0xbf7ba420, v9
	v_fma_f32 v9, 0xbf7ba420, v47, -v9
	v_mul_f32_e32 v16, 0x3eb8f4ab, v45
	v_add_f32_e32 v4, v8, v6
	v_add_f32_e32 v6, v11, v13
	v_fmac_f32_e32 v10, 0x3f6eb680, v46
	v_fma_f32 v11, 0xbf59a7d5, v46, -v18
	v_mul_f32_e32 v13, 0xbf06c442, v45
	v_add_f32_e32 v1, v1, v5
	v_add_f32_e32 v5, v9, v7
	v_fmamk_f32 v7, v47, 0x3f6eb680, v16
	v_fma_f32 v9, 0x3f6eb680, v47, -v16
	v_add_f32_e32 v8, v10, v15
	v_add_f32_e32 v10, v11, v20
	v_fmamk_f32 v11, v47, 0xbf59a7d5, v13
	v_mul_f32_e32 v16, 0x3f2c7751, v42
	v_fmac_f32_e32 v18, 0xbf59a7d5, v46
	v_fma_f32 v13, 0xbf59a7d5, v47, -v13
	v_mul_f32_e32 v15, 0x3f2c7751, v45
	v_mul_f32_e32 v20, 0xbf4c4adb, v42
	v_add_f32_e32 v44, v44, v23
	v_add_f32_e32 v7, v7, v14
	;; [unrolled: 1-line block ×4, first 2 shown]
	v_fma_f32 v14, 0x3f3d2fb0, v46, -v16
	v_add_f32_e32 v12, v18, v12
	v_add_f32_e32 v13, v13, v19
	v_fmamk_f32 v17, v47, 0x3f3d2fb0, v15
	v_fmac_f32_e32 v16, 0x3f3d2fb0, v46
	v_fma_f32 v18, 0x3f3d2fb0, v47, -v15
	v_fma_f32 v19, 0xbf1a4643, v46, -v20
	v_mul_f32_e32 v23, 0xbf4c4adb, v45
	v_mul_f32_e32 v25, 0x3f65296c, v42
	v_add_f32_e32 v15, v17, v26
	v_add_f32_e32 v16, v16, v21
	;; [unrolled: 1-line block ×4, first 2 shown]
	v_fmamk_f32 v19, v47, 0xbf1a4643, v23
	v_fmac_f32_e32 v20, 0xbf1a4643, v46
	v_fma_f32 v21, 0xbf1a4643, v47, -v23
	v_fma_f32 v23, 0x3ee437d1, v46, -v25
	v_mul_f32_e32 v26, 0x3f65296c, v45
	v_mul_f32_e32 v31, 0xbf763a35, v45
	v_add_f32_e32 v20, v20, v22
	v_add_f32_e32 v21, v21, v30
	;; [unrolled: 1-line block ×3, first 2 shown]
	v_fmamk_f32 v23, v47, 0x3ee437d1, v26
	v_mul_f32_e32 v30, 0xbf763a35, v42
	v_add_f32_e32 v19, v19, v34
	v_fmac_f32_e32 v25, 0x3ee437d1, v46
	v_fma_f32 v26, 0x3ee437d1, v47, -v26
	v_add_f32_e32 v23, v23, v32
	v_mul_f32_e32 v34, 0x3f7ee86f, v42
	v_mul_f32_e32 v32, 0x3f7ee86f, v45
	v_add_f32_e32 v14, v14, v29
	v_fma_f32 v28, 0xbe8c1d8e, v46, -v30
	v_fmamk_f32 v29, v47, 0xbe8c1d8e, v31
	v_add_f32_e32 v25, v25, v35
	v_add_f32_e32 v26, v26, v36
	v_fma_f32 v33, 0x3dbcf732, v46, -v34
	v_fmamk_f32 v35, v47, 0x3dbcf732, v32
	v_fmac_f32_e32 v34, 0x3dbcf732, v46
	v_fma_f32 v36, 0x3dbcf732, v47, -v32
	v_fmac_f32_e32 v30, 0xbe8c1d8e, v46
	v_fma_f32 v31, 0xbe8c1d8e, v47, -v31
	v_add_f32_e32 v28, v28, v43
	v_add_f32_e32 v29, v29, v40
	;; [unrolled: 1-line block ×8, first 2 shown]
	ds_write2_b64 v27, v[2:3], v[0:1] offset1:1
	ds_write2_b64 v27, v[6:7], v[10:11] offset0:2 offset1:3
	ds_write2_b64 v27, v[14:15], v[18:19] offset0:4 offset1:5
	;; [unrolled: 1-line block ×7, first 2 shown]
	ds_write_b64 v27, v[4:5] offset:128
	s_waitcnt lgkmcnt(0)
	s_barrier
	buffer_gl0_inv
	ds_read2_b64 v[0:3], v27 offset1:1
	ds_read2_b64 v[4:7], v27 offset0:2 offset1:3
	ds_read2_b64 v[8:11], v27 offset0:4 offset1:5
	s_clause 0x1
	s_load_dwordx16 s[68:83], s[6:7], 0xc0
	s_load_dwordx4 s[24:27], s[6:7], 0x100
	ds_read_b64 v[20:21], v27 offset:128
	s_mov_b32 s6, 0x1e1e1e1e
	s_mov_b32 s7, 0x3fae1e1e
	s_waitcnt lgkmcnt(0)
	v_mul_f32_e32 v12, s39, v1
	v_mul_f32_e32 v13, s39, v0
	;; [unrolled: 1-line block ×5, first 2 shown]
	v_fma_f32 v12, v0, s38, -v12
	v_fmac_f32_e32 v13, s38, v1
	v_fma_f32 v14, v2, s40, -v14
	v_fmac_f32_e32 v15, s40, v3
	ds_read2_b64 v[0:3], v27 offset0:6 offset1:7
	v_mul_f32_e32 v16, s43, v4
	v_mul_f32_e32 v19, s45, v7
	;; [unrolled: 1-line block ×3, first 2 shown]
	ds_write2_b64 v27, v[12:13], v[14:15] offset1:1
	v_fma_f32 v15, v4, s42, -v17
	v_fmac_f32_e32 v16, s42, v5
	v_fma_f32 v17, v6, s44, -v19
	v_fmac_f32_e32 v18, s44, v7
	v_mul_f32_e32 v12, s47, v9
	v_mul_f32_e32 v13, s47, v8
	;; [unrolled: 1-line block ×4, first 2 shown]
	ds_read2_b64 v[4:7], v27 offset0:8 offset1:9
	ds_write2_b64 v27, v[15:16], v[17:18] offset0:2 offset1:3
	v_fma_f32 v12, v8, s46, -v12
	v_fmac_f32_e32 v13, s46, v9
	v_fma_f32 v18, v10, s48, -v14
	v_fmac_f32_e32 v19, s48, v11
	ds_read2_b64 v[8:11], v27 offset0:10 offset1:11
	s_waitcnt lgkmcnt(4)
	v_mul_f32_e32 v15, s51, v1
	v_mul_f32_e32 v14, s51, v0
	;; [unrolled: 1-line block ×4, first 2 shown]
	ds_write2_b64 v27, v[12:13], v[18:19] offset0:4 offset1:5
	v_fma_f32 v13, v0, s50, -v15
	v_fmac_f32_e32 v14, s50, v1
	v_fma_f32 v15, v2, s68, -v17
	v_fmac_f32_e32 v16, s68, v3
	ds_read2_b64 v[0:3], v27 offset0:12 offset1:13
	ds_write2_b64 v27, v[13:14], v[15:16] offset0:6 offset1:7
	ds_read2_b64 v[12:15], v27 offset0:14 offset1:15
	s_waitcnt lgkmcnt(6)
	v_mul_f32_e32 v18, s71, v5
	v_mul_f32_e32 v17, s71, v4
	;; [unrolled: 1-line block ×3, first 2 shown]
	s_waitcnt lgkmcnt(4)
	v_mul_f32_e32 v22, s77, v11
	v_fma_f32 v16, v4, s70, -v18
	v_fmac_f32_e32 v17, s70, v5
	v_fma_f32 v4, v6, s72, -v19
	v_mul_f32_e32 v5, s73, v6
	v_mul_f32_e32 v6, s75, v9
	;; [unrolled: 1-line block ×4, first 2 shown]
	v_fma_f32 v22, v10, s76, -v22
	v_fmac_f32_e32 v5, s72, v7
	v_fma_f32 v18, v8, s74, -v6
	v_fmac_f32_e32 v19, s74, v9
	s_waitcnt lgkmcnt(2)
	v_mul_f32_e32 v7, s79, v0
	v_mul_f32_e32 v8, s81, v3
	;; [unrolled: 1-line block ×4, first 2 shown]
	s_waitcnt lgkmcnt(0)
	v_mul_f32_e32 v10, s83, v13
	v_fmac_f32_e32 v7, s78, v1
	v_fma_f32 v8, v2, s80, -v8
	v_fmac_f32_e32 v9, s80, v3
	v_mul_f32_e32 v1, s83, v12
	v_mul_f32_e32 v2, s25, v15
	;; [unrolled: 1-line block ×3, first 2 shown]
	v_fmac_f32_e32 v23, s76, v11
	v_fma_f32 v6, v0, s78, -v6
	v_fma_f32 v0, v12, s82, -v10
	v_mul_f32_e32 v10, s27, v21
	v_mul_f32_e32 v11, s27, v20
	v_fmac_f32_e32 v1, s82, v13
	v_fma_f32 v2, v14, s24, -v2
	v_fmac_f32_e32 v3, s24, v15
	v_fma_f32 v10, v20, s26, -v10
	v_fmac_f32_e32 v11, s26, v21
	ds_write2_b64 v27, v[16:17], v[4:5] offset0:8 offset1:9
	ds_write2_b64 v27, v[18:19], v[22:23] offset0:10 offset1:11
	;; [unrolled: 1-line block ×4, first 2 shown]
	ds_write_b64 v27, v[10:11] offset:128
	s_waitcnt lgkmcnt(0)
	s_barrier
	buffer_gl0_inv
	ds_read2_b64 v[28:31], v27 offset1:1
	ds_read2_b64 v[32:35], v27 offset0:2 offset1:3
	ds_read2_b64 v[12:15], v27 offset0:4 offset1:5
	;; [unrolled: 1-line block ×3, first 2 shown]
	s_waitcnt lgkmcnt(3)
	v_add_f32_e32 v0, v28, v30
	v_add_f32_e32 v1, v29, v31
	s_waitcnt lgkmcnt(2)
	v_add_f32_e32 v0, v0, v32
	v_add_f32_e32 v1, v1, v33
	;; [unrolled: 1-line block ×4, first 2 shown]
	s_waitcnt lgkmcnt(1)
	v_add_f32_e32 v9, v0, v12
	ds_read2_b64 v[0:3], v27 offset0:8 offset1:9
	v_add_f32_e32 v8, v8, v13
	v_add_f32_e32 v9, v9, v14
	v_add_f32_e32 v16, v8, v15
	s_waitcnt lgkmcnt(1)
	v_add_f32_e32 v17, v9, v4
	ds_read2_b64 v[8:11], v27 offset0:10 offset1:11
	v_add_f32_e32 v16, v16, v5
	v_add_f32_e32 v17, v17, v6
	v_add_f32_e32 v20, v16, v7
	;; [unrolled: 6-line block ×3, first 2 shown]
	ds_read2_b64 v[36:39], v27 offset0:14 offset1:15
	ds_read_b64 v[20:21], v27 offset:128
	s_waitcnt lgkmcnt(3)
	v_add_f32_e32 v22, v22, v8
	v_add_f32_e32 v23, v23, v9
	;; [unrolled: 1-line block ×4, first 2 shown]
	s_waitcnt lgkmcnt(2)
	v_add_f32_e32 v22, v22, v16
	v_add_f32_e32 v23, v23, v17
	;; [unrolled: 1-line block ×4, first 2 shown]
	s_waitcnt lgkmcnt(0)
	v_sub_f32_e32 v25, v31, v21
	v_add_f32_e32 v26, v20, v30
	v_add_f32_e32 v31, v21, v31
	;; [unrolled: 1-line block ×4, first 2 shown]
	v_mul_f32_e32 v40, 0xbeb8f4ab, v25
	v_sub_f32_e32 v30, v30, v20
	v_mul_f32_e32 v45, 0xbf65296c, v25
	v_add_f32_e32 v22, v22, v38
	v_mul_f32_e32 v50, 0xbf7ee86f, v25
	v_mul_f32_e32 v53, 0xbf763a35, v25
	;; [unrolled: 1-line block ×4, first 2 shown]
	v_add_f32_e32 v20, v22, v20
	v_mul_f32_e32 v22, 0xbf2c7751, v25
	v_mul_f32_e32 v25, 0xbe3c28d5, v25
	v_add_f32_e32 v23, v23, v39
	v_mul_f32_e32 v41, 0x3f6eb680, v31
	v_fmamk_f32 v42, v26, 0x3f6eb680, v40
	v_fma_f32 v40, 0x3f6eb680, v26, -v40
	v_fmamk_f32 v43, v26, 0x3f3d2fb0, v22
	v_mul_f32_e32 v44, 0x3f3d2fb0, v31
	v_fma_f32 v22, 0x3f3d2fb0, v26, -v22
	v_mul_f32_e32 v47, 0x3ee437d1, v31
	v_fmamk_f32 v48, v26, 0x3ee437d1, v45
	v_fma_f32 v45, 0x3ee437d1, v26, -v45
	v_mul_f32_e32 v51, 0x3dbcf732, v31
	v_fmamk_f32 v52, v26, 0x3dbcf732, v50
	v_fma_f32 v50, 0x3dbcf732, v26, -v50
	v_fmamk_f32 v55, v26, 0xbe8c1d8e, v53
	v_mul_f32_e32 v56, 0xbe8c1d8e, v31
	v_fma_f32 v53, 0xbe8c1d8e, v26, -v53
	v_mul_f32_e32 v59, 0xbf1a4643, v31
	v_fmamk_f32 v60, v26, 0xbf1a4643, v57
	v_fma_f32 v57, 0xbf1a4643, v26, -v57
	v_mul_f32_e32 v63, 0xbf59a7d5, v31
	v_fmamk_f32 v64, v26, 0xbf59a7d5, v62
	v_fma_f32 v62, 0xbf59a7d5, v26, -v62
	v_fmamk_f32 v66, v26, 0xbf7ba420, v25
	v_mul_f32_e32 v31, 0xbf7ba420, v31
	v_sub_f32_e32 v67, v33, v39
	v_fma_f32 v25, 0xbf7ba420, v26, -v25
	v_add_f32_e32 v26, v39, v33
	v_add_f32_e32 v21, v23, v21
	v_fmamk_f32 v23, v30, 0x3eb8f4ab, v41
	v_fmac_f32_e32 v41, 0xbeb8f4ab, v30
	v_fmamk_f32 v46, v30, 0x3f2c7751, v44
	v_fmac_f32_e32 v44, 0xbf2c7751, v30
	;; [unrolled: 2-line block ×7, first 2 shown]
	v_fmamk_f32 v68, v30, 0x3e3c28d5, v31
	v_add_f32_e32 v33, v38, v32
	v_mul_f32_e32 v39, 0xbf2c7751, v67
	v_fmac_f32_e32 v31, 0xbe3c28d5, v30
	v_sub_f32_e32 v30, v32, v38
	v_mul_f32_e32 v32, 0x3f3d2fb0, v26
	v_add_f32_e32 v42, v28, v42
	v_add_f32_e32 v23, v29, v23
	;; [unrolled: 1-line block ×30, first 2 shown]
	v_fmamk_f32 v68, v33, 0x3f3d2fb0, v39
	v_add_f32_e32 v25, v28, v25
	v_add_f32_e32 v28, v29, v31
	v_fmamk_f32 v29, v30, 0x3f2c7751, v32
	v_mul_f32_e32 v31, 0xbf7ee86f, v67
	v_fma_f32 v39, 0x3f3d2fb0, v33, -v39
	v_add_f32_e32 v42, v68, v42
	v_fmac_f32_e32 v32, 0xbf2c7751, v30
	v_add_f32_e32 v23, v29, v23
	v_fmamk_f32 v29, v33, 0x3dbcf732, v31
	v_mul_f32_e32 v68, 0x3dbcf732, v26
	v_add_f32_e32 v39, v39, v40
	v_mul_f32_e32 v40, 0xbf4c4adb, v67
	v_add_f32_e32 v32, v32, v41
	v_add_f32_e32 v29, v29, v43
	v_fmamk_f32 v41, v30, 0x3f7ee86f, v68
	v_fma_f32 v31, 0x3dbcf732, v33, -v31
	v_fmac_f32_e32 v68, 0xbf7ee86f, v30
	v_fmamk_f32 v43, v33, 0xbf1a4643, v40
	v_mul_f32_e32 v69, 0xbf1a4643, v26
	v_add_f32_e32 v41, v41, v46
	v_add_f32_e32 v22, v31, v22
	;; [unrolled: 1-line block ×4, first 2 shown]
	v_fmamk_f32 v44, v30, 0x3f4c4adb, v69
	v_mul_f32_e32 v46, 0xbe3c28d5, v67
	v_fma_f32 v40, 0xbf1a4643, v33, -v40
	v_fmac_f32_e32 v69, 0xbf4c4adb, v30
	v_mul_f32_e32 v48, 0xbf7ba420, v26
	v_add_f32_e32 v44, v44, v49
	v_fmamk_f32 v49, v33, 0xbf7ba420, v46
	v_add_f32_e32 v40, v40, v45
	v_add_f32_e32 v45, v69, v47
	v_fmamk_f32 v47, v30, 0x3e3c28d5, v48
	v_mul_f32_e32 v68, 0x3f06c442, v67
	v_add_f32_e32 v49, v49, v52
	v_fma_f32 v46, 0xbf7ba420, v33, -v46
	v_fmac_f32_e32 v48, 0xbe3c28d5, v30
	v_add_f32_e32 v47, v47, v54
	v_fmamk_f32 v52, v33, 0xbf59a7d5, v68
	v_mul_f32_e32 v54, 0xbf59a7d5, v26
	v_add_f32_e32 v46, v46, v50
	v_add_f32_e32 v48, v48, v51
	v_mul_f32_e32 v50, 0x3f763a35, v67
	v_add_f32_e32 v51, v52, v55
	v_fmamk_f32 v52, v30, 0xbf06c442, v54
	v_fmac_f32_e32 v54, 0x3f06c442, v30
	v_mul_f32_e32 v69, 0xbe8c1d8e, v26
	v_fma_f32 v55, 0xbf59a7d5, v33, -v68
	v_fmamk_f32 v68, v33, 0xbe8c1d8e, v50
	v_add_f32_e32 v52, v52, v58
	v_add_f32_e32 v54, v54, v56
	v_fmamk_f32 v56, v30, 0xbf763a35, v69
	v_mul_f32_e32 v58, 0x3f65296c, v67
	v_add_f32_e32 v53, v55, v53
	v_add_f32_e32 v55, v68, v60
	v_fma_f32 v50, 0xbe8c1d8e, v33, -v50
	v_mul_f32_e32 v60, 0x3ee437d1, v26
	v_add_f32_e32 v56, v56, v61
	v_fmamk_f32 v61, v33, 0x3ee437d1, v58
	v_mul_f32_e32 v67, 0x3eb8f4ab, v67
	v_fma_f32 v58, 0x3ee437d1, v33, -v58
	v_add_f32_e32 v50, v50, v57
	v_fmamk_f32 v57, v30, 0xbf65296c, v60
	v_add_f32_e32 v61, v61, v64
	v_fmac_f32_e32 v60, 0x3f65296c, v30
	v_fmamk_f32 v64, v33, 0x3f6eb680, v67
	v_add_f32_e32 v58, v58, v62
	v_sub_f32_e32 v62, v35, v37
	v_add_f32_e32 v57, v57, v65
	v_mul_f32_e32 v26, 0x3f6eb680, v26
	v_add_f32_e32 v60, v60, v63
	v_add_f32_e32 v63, v64, v66
	;; [unrolled: 1-line block ×3, first 2 shown]
	v_mul_f32_e32 v66, 0xbf65296c, v62
	v_add_f32_e32 v35, v37, v35
	v_fmac_f32_e32 v69, 0x3f763a35, v30
	v_fmamk_f32 v64, v30, 0xbeb8f4ab, v26
	v_fma_f32 v33, 0x3f6eb680, v33, -v67
	v_fmac_f32_e32 v26, 0x3eb8f4ab, v30
	v_sub_f32_e32 v30, v34, v36
	v_fmamk_f32 v34, v65, 0x3ee437d1, v66
	v_mul_f32_e32 v36, 0x3ee437d1, v35
	v_add_f32_e32 v25, v33, v25
	v_add_f32_e32 v26, v26, v28
	;; [unrolled: 1-line block ×4, first 2 shown]
	v_fmamk_f32 v33, v30, 0x3f65296c, v36
	v_mul_f32_e32 v34, 0xbf4c4adb, v62
	v_fma_f32 v38, 0x3ee437d1, v65, -v66
	v_fmac_f32_e32 v36, 0xbf65296c, v30
	v_mul_f32_e32 v42, 0xbf1a4643, v35
	v_add_f32_e32 v23, v33, v23
	v_fmamk_f32 v33, v65, 0xbf1a4643, v34
	v_add_f32_e32 v38, v38, v39
	v_add_f32_e32 v32, v36, v32
	v_fmamk_f32 v36, v30, 0x3f4c4adb, v42
	v_mul_f32_e32 v39, 0x3e3c28d5, v62
	v_add_f32_e32 v29, v33, v29
	v_fma_f32 v33, 0xbf1a4643, v65, -v34
	v_fmac_f32_e32 v42, 0xbf4c4adb, v30
	v_add_f32_e32 v34, v36, v41
	v_fmamk_f32 v36, v65, 0xbf7ba420, v39
	v_mul_f32_e32 v41, 0xbf7ba420, v35
	v_add_f32_e32 v22, v33, v22
	v_mul_f32_e32 v33, 0x3f763a35, v62
	v_add_f32_e32 v31, v42, v31
	v_add_f32_e32 v36, v36, v43
	v_fmamk_f32 v42, v30, 0xbe3c28d5, v41
	v_fma_f32 v39, 0xbf7ba420, v65, -v39
	v_fmac_f32_e32 v41, 0x3e3c28d5, v30
	v_fmamk_f32 v43, v65, 0xbe8c1d8e, v33
	v_mul_f32_e32 v64, 0xbe8c1d8e, v35
	v_add_f32_e32 v42, v42, v44
	v_add_f32_e32 v39, v39, v40
	;; [unrolled: 1-line block ×4, first 2 shown]
	v_fmamk_f32 v43, v30, 0xbf763a35, v64
	v_mul_f32_e32 v44, 0x3f2c7751, v62
	v_fma_f32 v33, 0xbe8c1d8e, v65, -v33
	v_fmac_f32_e32 v64, 0x3f763a35, v30
	v_mul_f32_e32 v45, 0x3f3d2fb0, v35
	v_add_f32_e32 v43, v43, v47
	v_fmamk_f32 v47, v65, 0x3f3d2fb0, v44
	v_add_f32_e32 v33, v33, v46
	v_add_f32_e32 v46, v64, v48
	v_fmamk_f32 v48, v30, 0xbf2c7751, v45
	v_mul_f32_e32 v49, 0xbeb8f4ab, v62
	v_fma_f32 v44, 0x3f3d2fb0, v65, -v44
	v_add_f32_e32 v47, v47, v51
	v_fmac_f32_e32 v45, 0x3f2c7751, v30
	v_add_f32_e32 v48, v48, v52
	v_fmamk_f32 v51, v65, 0x3f6eb680, v49
	v_mul_f32_e32 v52, 0x3f6eb680, v35
	v_add_f32_e32 v44, v44, v53
	v_mul_f32_e32 v53, 0xbf7ee86f, v62
	v_add_f32_e32 v59, v69, v59
	v_add_f32_e32 v45, v45, v54
	;; [unrolled: 1-line block ×3, first 2 shown]
	v_fmamk_f32 v54, v30, 0x3eb8f4ab, v52
	v_fma_f32 v49, 0x3f6eb680, v65, -v49
	v_fmac_f32_e32 v52, 0xbeb8f4ab, v30
	v_fmamk_f32 v55, v65, 0x3dbcf732, v53
	v_mul_f32_e32 v64, 0x3dbcf732, v35
	v_mul_f32_e32 v35, 0xbf59a7d5, v35
	v_add_f32_e32 v49, v49, v50
	v_add_f32_e32 v50, v52, v59
	;; [unrolled: 1-line block ×3, first 2 shown]
	v_fmamk_f32 v55, v30, 0x3f7ee86f, v64
	v_fma_f32 v53, 0x3dbcf732, v65, -v53
	v_fmac_f32_e32 v64, 0xbf7ee86f, v30
	v_add_f32_e32 v54, v54, v56
	v_mul_f32_e32 v56, 0xbf06c442, v62
	v_fmamk_f32 v59, v30, 0x3f06c442, v35
	v_add_f32_e32 v53, v53, v58
	v_add_f32_e32 v58, v64, v60
	v_sub_f32_e32 v60, v13, v19
	v_add_f32_e32 v13, v19, v13
	v_add_f32_e32 v55, v55, v57
	v_fmamk_f32 v57, v65, 0xbf59a7d5, v56
	v_add_f32_e32 v37, v59, v37
	v_add_f32_e32 v59, v18, v12
	v_mul_f32_e32 v19, 0xbf7ee86f, v60
	v_fma_f32 v56, 0xbf59a7d5, v65, -v56
	v_fmac_f32_e32 v35, 0xbf06c442, v30
	v_sub_f32_e32 v12, v12, v18
	v_mul_f32_e32 v18, 0x3dbcf732, v13
	v_fmamk_f32 v30, v59, 0x3dbcf732, v19
	v_add_f32_e32 v25, v56, v25
	v_add_f32_e32 v26, v35, v26
	v_mul_f32_e32 v35, 0xbe3c28d5, v60
	v_fmamk_f32 v56, v12, 0x3f7ee86f, v18
	v_add_f32_e32 v28, v30, v28
	v_fma_f32 v19, 0x3dbcf732, v59, -v19
	v_fmac_f32_e32 v18, 0xbf7ee86f, v12
	v_fmamk_f32 v30, v59, 0xbf7ba420, v35
	v_add_f32_e32 v23, v56, v23
	v_mul_f32_e32 v56, 0xbf7ba420, v13
	v_add_f32_e32 v19, v19, v38
	v_add_f32_e32 v18, v18, v32
	;; [unrolled: 1-line block ×3, first 2 shown]
	v_mul_f32_e32 v30, 0x3f763a35, v60
	v_fmamk_f32 v32, v12, 0x3e3c28d5, v56
	v_mul_f32_e32 v38, 0xbe8c1d8e, v13
	v_fma_f32 v35, 0xbf7ba420, v59, -v35
	v_fmac_f32_e32 v56, 0xbe3c28d5, v12
	v_fmamk_f32 v61, v59, 0xbe8c1d8e, v30
	v_add_f32_e32 v32, v32, v34
	v_fmamk_f32 v34, v12, 0xbf763a35, v38
	v_add_f32_e32 v22, v35, v22
	v_fma_f32 v30, 0xbe8c1d8e, v59, -v30
	v_add_f32_e32 v35, v61, v36
	v_mul_f32_e32 v36, 0x3eb8f4ab, v60
	v_fmac_f32_e32 v38, 0x3f763a35, v12
	v_add_f32_e32 v34, v34, v42
	v_mul_f32_e32 v42, 0x3f6eb680, v13
	v_add_f32_e32 v31, v56, v31
	v_fmamk_f32 v56, v59, 0x3f6eb680, v36
	v_add_f32_e32 v30, v30, v39
	v_add_f32_e32 v38, v38, v40
	v_mul_f32_e32 v39, 0xbf65296c, v60
	v_fmamk_f32 v40, v12, 0xbeb8f4ab, v42
	v_add_f32_e32 v41, v56, v41
	v_fma_f32 v36, 0x3f6eb680, v59, -v36
	v_fmac_f32_e32 v42, 0x3eb8f4ab, v12
	v_fmamk_f32 v56, v59, 0x3ee437d1, v39
	v_add_f32_e32 v40, v40, v43
	v_mul_f32_e32 v43, 0x3ee437d1, v13
	v_add_f32_e32 v33, v36, v33
	v_add_f32_e32 v36, v42, v46
	;; [unrolled: 1-line block ×3, first 2 shown]
	v_mul_f32_e32 v46, 0xbf06c442, v60
	v_fmamk_f32 v47, v12, 0x3f65296c, v43
	v_fma_f32 v39, 0x3ee437d1, v59, -v39
	v_mul_f32_e32 v56, 0xbf59a7d5, v13
	v_fmac_f32_e32 v43, 0xbf65296c, v12
	v_fmamk_f32 v61, v59, 0xbf59a7d5, v46
	v_add_f32_e32 v47, v47, v48
	v_add_f32_e32 v39, v39, v44
	v_fmamk_f32 v44, v12, 0x3f06c442, v56
	v_mul_f32_e32 v48, 0x3f4c4adb, v60
	v_fma_f32 v46, 0xbf59a7d5, v59, -v46
	v_fmac_f32_e32 v56, 0xbf06c442, v12
	v_add_f32_e32 v57, v57, v63
	v_add_f32_e32 v44, v44, v54
	v_fmamk_f32 v54, v59, 0xbf1a4643, v48
	v_add_f32_e32 v46, v46, v49
	v_add_f32_e32 v49, v56, v50
	v_mul_f32_e32 v50, 0x3f2c7751, v60
	v_add_f32_e32 v43, v43, v45
	v_add_f32_e32 v45, v61, v51
	v_mul_f32_e32 v51, 0xbf1a4643, v13
	v_add_f32_e32 v52, v54, v52
	v_fma_f32 v48, 0xbf1a4643, v59, -v48
	v_fmamk_f32 v54, v59, 0x3f3d2fb0, v50
	v_mul_f32_e32 v13, 0x3f3d2fb0, v13
	v_fmamk_f32 v56, v12, 0xbf4c4adb, v51
	v_fmac_f32_e32 v51, 0x3f4c4adb, v12
	v_add_f32_e32 v48, v48, v53
	v_add_f32_e32 v53, v54, v57
	v_sub_f32_e32 v54, v15, v17
	v_add_f32_e32 v15, v17, v15
	v_add_f32_e32 v55, v56, v55
	v_fmamk_f32 v56, v12, 0xbf2c7751, v13
	v_fma_f32 v50, 0x3f3d2fb0, v59, -v50
	v_add_f32_e32 v17, v16, v14
	v_mul_f32_e32 v57, 0xbf763a35, v54
	v_fmac_f32_e32 v13, 0x3f2c7751, v12
	v_sub_f32_e32 v12, v14, v16
	v_mul_f32_e32 v14, 0xbe8c1d8e, v15
	v_add_f32_e32 v16, v56, v37
	v_fmamk_f32 v37, v17, 0xbe8c1d8e, v57
	v_add_f32_e32 v25, v50, v25
	v_add_f32_e32 v13, v13, v26
	v_fmamk_f32 v26, v12, 0x3f763a35, v14
	v_mul_f32_e32 v50, 0x3f06c442, v54
	v_fmac_f32_e32 v14, 0xbf763a35, v12
	v_add_f32_e32 v28, v37, v28
	v_fma_f32 v37, 0xbe8c1d8e, v17, -v57
	v_add_f32_e32 v23, v26, v23
	v_fmamk_f32 v26, v17, 0xbf59a7d5, v50
	v_mul_f32_e32 v56, 0xbf59a7d5, v15
	v_add_f32_e32 v14, v14, v18
	v_mul_f32_e32 v18, 0x3f2c7751, v54
	v_add_f32_e32 v19, v37, v19
	v_add_f32_e32 v26, v26, v29
	v_fmamk_f32 v29, v12, 0xbf06c442, v56
	v_fma_f32 v37, 0xbf59a7d5, v17, -v50
	v_fmamk_f32 v50, v17, 0x3f3d2fb0, v18
	v_mul_f32_e32 v57, 0x3f3d2fb0, v15
	v_fmac_f32_e32 v56, 0x3f06c442, v12
	v_add_f32_e32 v29, v29, v32
	v_add_f32_e32 v22, v37, v22
	;; [unrolled: 1-line block ×3, first 2 shown]
	v_fmamk_f32 v35, v12, 0xbf2c7751, v57
	v_mul_f32_e32 v37, 0xbf65296c, v54
	v_fma_f32 v18, 0x3f3d2fb0, v17, -v18
	v_fmac_f32_e32 v57, 0x3f2c7751, v12
	v_mul_f32_e32 v50, 0x3ee437d1, v15
	v_add_f32_e32 v31, v56, v31
	v_add_f32_e32 v34, v35, v34
	v_fmamk_f32 v35, v17, 0x3ee437d1, v37
	v_add_f32_e32 v18, v18, v30
	v_add_f32_e32 v30, v57, v38
	v_fmamk_f32 v38, v12, 0x3f65296c, v50
	v_mul_f32_e32 v56, 0xbe3c28d5, v54
	v_fma_f32 v37, 0x3ee437d1, v17, -v37
	v_add_f32_e32 v35, v35, v41
	v_fmac_f32_e32 v50, 0xbf65296c, v12
	v_add_f32_e32 v38, v38, v40
	v_fmamk_f32 v40, v17, 0xbf7ba420, v56
	v_mul_f32_e32 v41, 0xbf7ba420, v15
	v_add_f32_e32 v33, v37, v33
	v_mul_f32_e32 v37, 0x3f7ee86f, v54
	v_add_f32_e32 v36, v50, v36
	v_add_f32_e32 v40, v40, v42
	v_fmamk_f32 v42, v12, 0x3e3c28d5, v41
	v_fma_f32 v50, 0xbf7ba420, v17, -v56
	v_fmac_f32_e32 v41, 0xbe3c28d5, v12
	v_fmamk_f32 v56, v17, 0x3dbcf732, v37
	v_mul_f32_e32 v57, 0x3dbcf732, v15
	v_add_f32_e32 v42, v42, v47
	v_mul_f32_e32 v47, 0xbeb8f4ab, v54
	v_add_f32_e32 v41, v41, v43
	v_add_f32_e32 v43, v56, v45
	v_fmamk_f32 v45, v12, 0xbf7ee86f, v57
	v_add_f32_e32 v39, v50, v39
	v_fma_f32 v37, 0x3dbcf732, v17, -v37
	v_mul_f32_e32 v50, 0x3f6eb680, v15
	v_mul_f32_e32 v54, 0xbf4c4adb, v54
	v_add_f32_e32 v44, v45, v44
	v_fmamk_f32 v45, v17, 0x3f6eb680, v47
	v_fma_f32 v47, 0x3f6eb680, v17, -v47
	v_add_f32_e32 v51, v51, v58
	v_add_f32_e32 v37, v37, v46
	v_fmamk_f32 v46, v12, 0x3eb8f4ab, v50
	v_add_f32_e32 v45, v45, v52
	v_fmac_f32_e32 v50, 0xbeb8f4ab, v12
	v_fmamk_f32 v52, v17, 0xbf1a4643, v54
	v_add_f32_e32 v47, v47, v48
	v_sub_f32_e32 v48, v5, v11
	v_add_f32_e32 v46, v46, v55
	v_mul_f32_e32 v15, 0xbf1a4643, v15
	v_add_f32_e32 v50, v50, v51
	v_add_f32_e32 v51, v52, v53
	;; [unrolled: 1-line block ×3, first 2 shown]
	v_mul_f32_e32 v55, 0xbf4c4adb, v48
	v_add_f32_e32 v5, v11, v5
	v_fmac_f32_e32 v57, 0x3f7ee86f, v12
	v_fmamk_f32 v52, v12, 0x3f4c4adb, v15
	v_fma_f32 v11, 0xbf1a4643, v17, -v54
	v_fmac_f32_e32 v15, 0xbf4c4adb, v12
	v_sub_f32_e32 v4, v4, v10
	v_fmamk_f32 v10, v53, 0xbf1a4643, v55
	v_mul_f32_e32 v12, 0xbf1a4643, v5
	v_add_f32_e32 v11, v11, v25
	v_add_f32_e32 v13, v15, v13
	v_mul_f32_e32 v17, 0x3f763a35, v48
	v_add_f32_e32 v10, v10, v28
	v_fmamk_f32 v15, v4, 0x3f4c4adb, v12
	v_fma_f32 v25, 0xbf1a4643, v53, -v55
	v_fmac_f32_e32 v12, 0xbf4c4adb, v4
	v_mul_f32_e32 v28, 0xbe8c1d8e, v5
	v_add_f32_e32 v16, v52, v16
	v_add_f32_e32 v15, v15, v23
	v_fmamk_f32 v23, v53, 0xbe8c1d8e, v17
	v_add_f32_e32 v19, v25, v19
	v_add_f32_e32 v12, v12, v14
	v_fmamk_f32 v14, v4, 0xbf763a35, v28
	v_mul_f32_e32 v25, 0xbeb8f4ab, v48
	v_fma_f32 v17, 0xbe8c1d8e, v53, -v17
	v_fmac_f32_e32 v28, 0x3f763a35, v4
	v_add_f32_e32 v23, v23, v26
	v_add_f32_e32 v14, v14, v29
	v_fmamk_f32 v26, v53, 0x3f6eb680, v25
	v_mul_f32_e32 v29, 0x3f6eb680, v5
	v_add_f32_e32 v17, v17, v22
	v_add_f32_e32 v22, v28, v31
	v_mul_f32_e32 v28, 0xbf06c442, v48
	v_add_f32_e32 v26, v26, v32
	v_fmamk_f32 v31, v4, 0x3eb8f4ab, v29
	v_fma_f32 v25, 0x3f6eb680, v53, -v25
	v_fmac_f32_e32 v29, 0xbeb8f4ab, v4
	v_fmamk_f32 v32, v53, 0xbf59a7d5, v28
	v_mul_f32_e32 v52, 0xbf59a7d5, v5
	v_add_f32_e32 v31, v31, v34
	v_add_f32_e32 v18, v25, v18
	;; [unrolled: 1-line block ×4, first 2 shown]
	v_fmamk_f32 v30, v4, 0x3f06c442, v52
	v_mul_f32_e32 v32, 0x3f7ee86f, v48
	v_fma_f32 v28, 0xbf59a7d5, v53, -v28
	v_fmac_f32_e32 v52, 0xbf06c442, v4
	v_mul_f32_e32 v34, 0x3dbcf732, v5
	v_add_f32_e32 v30, v30, v38
	v_fmamk_f32 v35, v53, 0x3dbcf732, v32
	v_add_f32_e32 v28, v28, v33
	v_add_f32_e32 v33, v52, v36
	v_fmamk_f32 v36, v4, 0xbf7ee86f, v34
	v_mul_f32_e32 v38, 0xbf2c7751, v48
	v_fma_f32 v32, 0x3dbcf732, v53, -v32
	v_add_f32_e32 v35, v35, v40
	v_fmac_f32_e32 v34, 0x3f7ee86f, v4
	v_add_f32_e32 v36, v36, v42
	v_fmamk_f32 v40, v53, 0x3f3d2fb0, v38
	v_mul_f32_e32 v42, 0x3f3d2fb0, v5
	v_add_f32_e32 v32, v32, v39
	v_mul_f32_e32 v39, 0xbe3c28d5, v48
	v_add_f32_e32 v49, v57, v49
	v_add_f32_e32 v34, v34, v41
	;; [unrolled: 1-line block ×3, first 2 shown]
	v_fmamk_f32 v41, v4, 0x3f2c7751, v42
	v_fma_f32 v38, 0x3f3d2fb0, v53, -v38
	v_fmac_f32_e32 v42, 0xbf2c7751, v4
	v_fmamk_f32 v43, v53, 0xbf7ba420, v39
	v_mul_f32_e32 v52, 0xbf7ba420, v5
	v_mul_f32_e32 v5, 0x3ee437d1, v5
	v_add_f32_e32 v37, v38, v37
	v_add_f32_e32 v38, v42, v49
	;; [unrolled: 1-line block ×3, first 2 shown]
	v_fmamk_f32 v43, v4, 0x3e3c28d5, v52
	v_add_f32_e32 v41, v41, v44
	v_mul_f32_e32 v44, 0x3f65296c, v48
	v_sub_f32_e32 v48, v7, v9
	v_add_f32_e32 v7, v9, v7
	v_add_f32_e32 v43, v43, v46
	v_fmamk_f32 v46, v4, 0xbf65296c, v5
	v_fmac_f32_e32 v52, 0xbe3c28d5, v4
	v_fmamk_f32 v45, v53, 0x3ee437d1, v44
	v_mul_f32_e32 v9, 0xbf06c442, v48
	v_fma_f32 v44, 0x3ee437d1, v53, -v44
	v_add_f32_e32 v16, v46, v16
	v_add_f32_e32 v46, v8, v6
	v_fmac_f32_e32 v5, 0x3f65296c, v4
	v_sub_f32_e32 v4, v6, v8
	v_mul_f32_e32 v6, 0xbf59a7d5, v7
	v_add_f32_e32 v11, v44, v11
	v_fmamk_f32 v8, v46, 0xbf59a7d5, v9
	v_add_f32_e32 v5, v5, v13
	v_mul_f32_e32 v13, 0x3f65296c, v48
	v_fmamk_f32 v44, v4, 0x3f06c442, v6
	v_fma_f32 v9, 0xbf59a7d5, v46, -v9
	v_add_f32_e32 v8, v8, v10
	v_fmac_f32_e32 v6, 0xbf06c442, v4
	v_fmamk_f32 v10, v46, 0x3ee437d1, v13
	v_add_f32_e32 v15, v44, v15
	v_mul_f32_e32 v44, 0x3ee437d1, v7
	v_add_f32_e32 v9, v9, v19
	v_add_f32_e32 v6, v6, v12
	;; [unrolled: 1-line block ×3, first 2 shown]
	v_mul_f32_e32 v12, 0xbf7ee86f, v48
	v_fmamk_f32 v19, v4, 0xbf65296c, v44
	v_mul_f32_e32 v23, 0x3dbcf732, v7
	v_fma_f32 v13, 0x3ee437d1, v46, -v13
	v_fmac_f32_e32 v44, 0x3f65296c, v4
	v_fmamk_f32 v49, v46, 0x3dbcf732, v12
	v_add_f32_e32 v14, v19, v14
	v_fmamk_f32 v19, v4, 0x3f7ee86f, v23
	v_add_f32_e32 v13, v13, v17
	v_add_f32_e32 v17, v44, v22
	;; [unrolled: 1-line block ×3, first 2 shown]
	v_mul_f32_e32 v26, 0x3f4c4adb, v48
	v_fma_f32 v12, 0x3dbcf732, v46, -v12
	v_fmac_f32_e32 v23, 0xbf7ee86f, v4
	v_add_f32_e32 v19, v19, v31
	v_mul_f32_e32 v31, 0xbf1a4643, v7
	v_fmamk_f32 v44, v46, 0xbf1a4643, v26
	v_add_f32_e32 v12, v12, v18
	v_add_f32_e32 v18, v23, v25
	v_mul_f32_e32 v23, 0xbeb8f4ab, v48
	v_fmamk_f32 v25, v4, 0xbf4c4adb, v31
	v_add_f32_e32 v29, v44, v29
	v_fma_f32 v26, 0xbf1a4643, v46, -v26
	v_fmac_f32_e32 v31, 0x3f4c4adb, v4
	v_fmamk_f32 v44, v46, 0x3f6eb680, v23
	v_add_f32_e32 v25, v25, v30
	v_mul_f32_e32 v30, 0x3f6eb680, v7
	v_add_f32_e32 v26, v26, v28
	v_add_f32_e32 v28, v31, v33
	v_add_f32_e32 v31, v44, v35
	v_mul_f32_e32 v33, 0xbe3c28d5, v48
	v_fmamk_f32 v35, v4, 0x3eb8f4ab, v30
	v_fma_f32 v23, 0x3f6eb680, v46, -v23
	v_mul_f32_e32 v44, 0xbf7ba420, v7
	v_fmac_f32_e32 v30, 0xbeb8f4ab, v4
	v_fmamk_f32 v49, v46, 0xbf7ba420, v33
	v_add_f32_e32 v35, v35, v36
	v_add_f32_e32 v23, v23, v32
	v_fmamk_f32 v32, v4, 0x3e3c28d5, v44
	v_mul_f32_e32 v36, 0x3f2c7751, v48
	v_fma_f32 v33, 0xbf7ba420, v46, -v33
	v_fmac_f32_e32 v44, 0xbe3c28d5, v4
	v_fma_f32 v39, 0xbf7ba420, v53, -v39
	v_add_f32_e32 v30, v30, v34
	v_add_f32_e32 v34, v49, v40
	;; [unrolled: 1-line block ×3, first 2 shown]
	v_mul_f32_e32 v40, 0x3f3d2fb0, v7
	v_fmamk_f32 v41, v46, 0x3f3d2fb0, v36
	v_add_f32_e32 v33, v33, v37
	v_add_f32_e32 v37, v44, v38
	v_mul_f32_e32 v38, 0xbf763a35, v48
	v_add_f32_e32 v39, v39, v47
	v_add_f32_e32 v47, v52, v50
	;; [unrolled: 1-line block ×3, first 2 shown]
	v_fmamk_f32 v44, v4, 0xbf2c7751, v40
	v_add_f32_e32 v41, v41, v42
	v_fma_f32 v36, 0x3f3d2fb0, v46, -v36
	v_fmac_f32_e32 v40, 0x3f2c7751, v4
	v_fmamk_f32 v42, v46, 0xbe8c1d8e, v38
	v_mul_f32_e32 v7, 0xbe8c1d8e, v7
	v_add_f32_e32 v43, v44, v43
	v_add_f32_e32 v36, v36, v39
	;; [unrolled: 1-line block ×4, first 2 shown]
	v_sub_f32_e32 v42, v1, v3
	v_fmamk_f32 v44, v4, 0x3f763a35, v7
	v_fma_f32 v38, 0xbe8c1d8e, v46, -v38
	v_add_f32_e32 v45, v3, v1
	v_add_f32_e32 v46, v2, v0
	v_mul_f32_e32 v1, 0xbe3c28d5, v42
	v_fmac_f32_e32 v7, 0xbf763a35, v4
	v_sub_f32_e32 v47, v0, v2
	v_mul_f32_e32 v3, 0xbf7ba420, v45
	v_add_f32_e32 v38, v38, v11
	v_fmamk_f32 v0, v46, 0xbf7ba420, v1
	v_add_f32_e32 v48, v7, v5
	v_mul_f32_e32 v5, 0x3eb8f4ab, v42
	v_fmamk_f32 v2, v47, 0x3e3c28d5, v3
	v_fma_f32 v4, 0xbf7ba420, v46, -v1
	v_add_f32_e32 v0, v0, v8
	v_fmac_f32_e32 v3, 0xbe3c28d5, v47
	v_fmamk_f32 v7, v46, 0x3f6eb680, v5
	v_mul_f32_e32 v8, 0x3f6eb680, v45
	v_add_f32_e32 v1, v2, v15
	v_add_f32_e32 v2, v4, v9
	;; [unrolled: 1-line block ×3, first 2 shown]
	v_mul_f32_e32 v9, 0xbf06c442, v42
	v_add_f32_e32 v4, v7, v10
	v_fmamk_f32 v6, v47, 0xbeb8f4ab, v8
	v_fma_f32 v7, 0x3f6eb680, v46, -v5
	v_fmac_f32_e32 v8, 0x3eb8f4ab, v47
	v_fmamk_f32 v10, v46, 0xbf59a7d5, v9
	v_mul_f32_e32 v11, 0xbf59a7d5, v45
	v_add_f32_e32 v5, v6, v14
	v_add_f32_e32 v6, v7, v13
	v_mul_f32_e32 v13, 0x3f2c7751, v42
	v_add_f32_e32 v44, v44, v16
	v_add_f32_e32 v7, v8, v17
	;; [unrolled: 1-line block ×3, first 2 shown]
	v_fmamk_f32 v10, v47, 0x3f06c442, v11
	v_fma_f32 v14, 0xbf59a7d5, v46, -v9
	v_fmac_f32_e32 v11, 0xbf06c442, v47
	v_mul_f32_e32 v15, 0x3f3d2fb0, v45
	v_fmamk_f32 v16, v46, 0x3f3d2fb0, v13
	v_mul_f32_e32 v17, 0xbf4c4adb, v42
	v_add_f32_e32 v9, v10, v19
	v_add_f32_e32 v10, v14, v12
	;; [unrolled: 1-line block ×3, first 2 shown]
	v_fmamk_f32 v14, v47, 0xbf2c7751, v15
	v_add_f32_e32 v12, v16, v29
	v_fma_f32 v16, 0x3f3d2fb0, v46, -v13
	v_fmac_f32_e32 v15, 0x3f2c7751, v47
	v_fmamk_f32 v18, v46, 0xbf1a4643, v17
	v_mul_f32_e32 v19, 0xbf1a4643, v45
	v_add_f32_e32 v13, v14, v25
	v_add_f32_e32 v14, v16, v26
	;; [unrolled: 1-line block ×3, first 2 shown]
	v_mul_f32_e32 v25, 0x3f65296c, v42
	v_add_f32_e32 v16, v18, v31
	v_fmamk_f32 v18, v47, 0x3f4c4adb, v19
	v_fma_f32 v22, 0xbf1a4643, v46, -v17
	v_mul_f32_e32 v28, 0x3ee437d1, v45
	v_fmac_f32_e32 v19, 0xbf4c4adb, v47
	v_fmamk_f32 v26, v46, 0x3ee437d1, v25
	v_add_f32_e32 v17, v18, v35
	v_add_f32_e32 v18, v22, v23
	v_fmamk_f32 v23, v47, 0xbf65296c, v28
	v_mul_f32_e32 v29, 0xbf763a35, v42
	v_fma_f32 v25, 0x3ee437d1, v46, -v25
	v_mul_f32_e32 v31, 0xbe8c1d8e, v45
	v_add_f32_e32 v19, v19, v30
	v_add_f32_e32 v22, v26, v34
	v_fmac_f32_e32 v28, 0x3f65296c, v47
	v_add_f32_e32 v23, v23, v32
	v_fmamk_f32 v30, v46, 0xbe8c1d8e, v29
	v_add_f32_e32 v25, v25, v33
	v_fmamk_f32 v32, v47, 0x3f763a35, v31
	v_fma_f32 v33, 0xbe8c1d8e, v46, -v29
	v_mul_f32_e32 v34, 0x3f7ee86f, v42
	v_mul_f32_e32 v35, 0x3dbcf732, v45
	v_add_f32_e32 v26, v28, v37
	v_add_f32_e32 v28, v30, v41
	;; [unrolled: 1-line block ×4, first 2 shown]
	v_fmamk_f32 v32, v46, 0x3dbcf732, v34
	v_fmamk_f32 v33, v47, 0xbf7ee86f, v35
	v_fma_f32 v34, 0x3dbcf732, v46, -v34
	v_fmac_f32_e32 v35, 0x3f7ee86f, v47
	v_fmac_f32_e32 v31, 0xbf763a35, v47
	v_add_f32_e32 v32, v32, v40
	v_add_f32_e32 v33, v33, v44
	;; [unrolled: 1-line block ×5, first 2 shown]
	ds_write2_b64 v27, v[20:21], v[0:1] offset1:1
	ds_write2_b64 v27, v[4:5], v[8:9] offset0:2 offset1:3
	ds_write2_b64 v27, v[12:13], v[16:17] offset0:4 offset1:5
	;; [unrolled: 1-line block ×7, first 2 shown]
	ds_write_b64 v27, v[2:3] offset:128
	s_waitcnt lgkmcnt(0)
	s_barrier
	buffer_gl0_inv
	ds_read2_b64 v[0:3], v27 offset1:1
	ds_read2_b64 v[4:7], v27 offset0:2 offset1:3
	s_waitcnt lgkmcnt(1)
	v_mul_f32_e32 v8, s53, v1
	v_mul_f32_e32 v12, s55, v3
	v_mul_f32_e32 v10, s55, v2
	s_waitcnt lgkmcnt(0)
	v_mul_f32_e32 v14, s57, v5
	v_mul_f32_e32 v15, s57, v4
	v_fmac_f32_e32 v8, s52, v0
	v_mul_f32_e32 v0, s53, v0
	v_fmac_f32_e32 v12, s54, v2
	v_fma_f32 v13, s54, v3, -v10
	v_mad_u64_u32 v[10:11], null, s2, v24, 0
	v_fma_f32 v0, s52, v1, -v0
	v_cvt_f64_f32_e32 v[8:9], v8
	v_cvt_f64_f32_e32 v[2:3], v12
	;; [unrolled: 1-line block ×3, first 2 shown]
	v_fmac_f32_e32 v14, s56, v4
	v_cvt_f64_f32_e32 v[0:1], v0
	v_fma_f32 v5, s56, v5, -v15
	v_mov_b32_e32 v4, v11
	v_mul_f32_e32 v20, s59, v7
	v_cvt_f64_f32_e32 v[14:15], v14
	v_cvt_f64_f32_e32 v[16:17], v5
	v_fmac_f32_e32 v20, s58, v6
	v_mul_f32_e32 v6, s59, v6
	v_fma_f32 v6, s58, v7, -v6
	v_mul_f64 v[8:9], v[8:9], s[6:7]
	v_mul_f64 v[12:13], v[12:13], s[6:7]
	;; [unrolled: 1-line block ×3, first 2 shown]
	v_mad_u64_u32 v[0:1], null, s3, v24, v[4:5]
	v_mul_f64 v[4:5], v[2:3], s[6:7]
	v_mul_f64 v[14:15], v[14:15], s[6:7]
	s_load_dwordx2 s[2:3], s[4:5], 0x38
	v_mul_f64 v[16:17], v[16:17], s[6:7]
	v_mov_b32_e32 v11, v0
	ds_read2_b64 v[0:3], v27 offset0:4 offset1:5
	v_lshlrev_b64 v[10:11], 3, v[10:11]
	v_cvt_f32_f64_e32 v8, v[8:9]
	v_cvt_f32_f64_e32 v21, v[12:13]
	v_cvt_f64_f32_e32 v[12:13], v6
	v_cvt_f32_f64_e32 v9, v[18:19]
	v_cvt_f64_f32_e32 v[18:19], v20
	v_cvt_f32_f64_e32 v20, v[4:5]
	ds_read2_b64 v[4:7], v27 offset0:6 offset1:7
	v_cvt_f32_f64_e32 v14, v[14:15]
	v_cvt_f32_f64_e32 v15, v[16:17]
	s_waitcnt lgkmcnt(0)
	v_add_co_u32 v10, vcc_lo, s2, v10
	v_mul_f32_e32 v24, s61, v1
	v_mul_f32_e32 v25, s61, v0
	;; [unrolled: 1-line block ×4, first 2 shown]
	v_add_co_ci_u32_e32 v11, vcc_lo, s3, v11, vcc_lo
	v_fmac_f32_e32 v24, s60, v0
	v_fma_f32 v25, s60, v1, -v25
	v_fmac_f32_e32 v26, s62, v2
	v_fma_f32 v2, s62, v3, -v28
	s_lshl_b64 s[2:3], s[0:1], 3
	v_cvt_f64_f32_e32 v[0:1], v24
	v_cvt_f64_f32_e32 v[16:17], v25
	;; [unrolled: 1-line block ×4, first 2 shown]
	v_mul_f32_e32 v3, s65, v5
	v_mul_f32_e32 v32, s65, v4
	;; [unrolled: 1-line block ×3, first 2 shown]
	v_mul_f64 v[18:19], v[18:19], s[6:7]
	v_mul_f64 v[12:13], v[12:13], s[6:7]
	v_fmac_f32_e32 v3, s64, v4
	v_fma_f32 v2, s64, v5, -v32
	v_mul_f32_e32 v5, s67, v7
	v_mad_u64_u32 v[24:25], null, s0, 24, v[10:11]
	v_cvt_f64_f32_e32 v[32:33], v3
	v_cvt_f64_f32_e32 v[34:35], v2
	v_fmac_f32_e32 v5, s66, v6
	v_fma_f32 v6, s66, v7, -v26
	v_add_co_u32 v22, vcc_lo, v10, s2
	v_add_co_ci_u32_e32 v23, vcc_lo, s3, v11, vcc_lo
	v_mul_f64 v[36:37], v[0:1], s[6:7]
	ds_read2_b64 v[0:3], v27 offset0:8 offset1:9
	v_mul_f64 v[16:17], v[16:17], s[6:7]
	v_cvt_f64_f32_e32 v[38:39], v5
	v_cvt_f64_f32_e32 v[40:41], v6
	s_lshl_b64 s[2:3], s[0:1], 4
	v_mov_b32_e32 v4, v25
	v_add_co_u32 v5, vcc_lo, v10, s2
	v_add_co_ci_u32_e32 v6, vcc_lo, s3, v11, vcc_lo
	global_store_dwordx2 v[10:11], v[8:9], off
	v_mad_u64_u32 v[25:26], null, s1, 24, v[4:5]
	v_mul_f64 v[8:9], v[28:29], s[6:7]
	v_mul_f64 v[28:29], v[30:31], s[6:7]
	global_store_dwordx2 v[22:23], v[20:21], off
	global_store_dwordx2 v[5:6], v[14:15], off
	v_cvt_f32_f64_e32 v14, v[18:19]
	v_cvt_f32_f64_e32 v15, v[12:13]
	v_mul_f64 v[12:13], v[32:33], s[6:7]
	v_mul_f64 v[18:19], v[34:35], s[6:7]
	s_waitcnt lgkmcnt(0)
	v_mul_f32_e32 v26, s9, v1
	v_mad_u64_u32 v[20:21], null, s0, 40, v[10:11]
	v_mul_f32_e32 v34, s9, v0
	ds_read2_b64 v[4:7], v27 offset0:10 offset1:11
	v_fmac_f32_e32 v26, s8, v0
	v_mul_f64 v[30:31], v[38:39], s[6:7]
	v_mul_f64 v[32:33], v[40:41], s[6:7]
	v_cvt_f32_f64_e32 v23, v[16:17]
	v_mov_b32_e32 v0, v21
	v_cvt_f64_f32_e32 v[16:17], v26
	v_fma_f32 v21, s8, v1, -v34
	v_mul_f32_e32 v26, s11, v2
	v_cvt_f32_f64_e32 v22, v[36:37]
	v_mad_u64_u32 v[0:1], null, s1, 40, v[0:1]
	v_cvt_f64_f32_e32 v[34:35], v21
	v_mul_f32_e32 v21, s11, v3
	v_cvt_f32_f64_e32 v8, v[8:9]
	v_cvt_f32_f64_e32 v9, v[28:29]
	v_mad_u64_u32 v[28:29], null, s0, 48, v[10:11]
	v_cvt_f32_f64_e32 v12, v[12:13]
	v_cvt_f32_f64_e32 v13, v[18:19]
	v_mad_u64_u32 v[18:19], null, s0, 56, v[10:11]
	v_fmac_f32_e32 v21, s10, v2
	v_fma_f32 v3, s10, v3, -v26
	s_waitcnt lgkmcnt(0)
	v_mul_f32_e32 v26, s13, v5
	v_mov_b32_e32 v1, v29
	v_cvt_f32_f64_e32 v30, v[30:31]
	v_cvt_f32_f64_e32 v31, v[32:33]
	v_mov_b32_e32 v2, v19
	v_mul_f64 v[16:17], v[16:17], s[6:7]
	v_cvt_f64_f32_e32 v[32:33], v21
	v_cvt_f64_f32_e32 v[36:37], v3
	v_fmac_f32_e32 v26, s12, v4
	v_mad_u64_u32 v[38:39], null, s1, 48, v[1:2]
	v_mad_u64_u32 v[1:2], null, s1, 56, v[2:3]
	v_mul_f64 v[2:3], v[34:35], s[6:7]
	v_cvt_f64_f32_e32 v[34:35], v26
	s_lshl_b64 s[2:3], s[0:1], 5
	v_mov_b32_e32 v21, v0
	v_add_co_u32 v39, vcc_lo, v10, s2
	v_add_co_ci_u32_e32 v40, vcc_lo, s3, v11, vcc_lo
	v_mov_b32_e32 v19, v1
	v_mul_f32_e32 v0, s13, v4
	v_mul_f32_e32 v1, s15, v7
	;; [unrolled: 1-line block ×3, first 2 shown]
	v_mov_b32_e32 v29, v38
	global_store_dwordx2 v[24:25], v[14:15], off
	global_store_dwordx2 v[39:40], v[22:23], off
	;; [unrolled: 1-line block ×5, first 2 shown]
	v_cvt_f32_f64_e32 v8, v[16:17]
	v_mul_f64 v[12:13], v[32:33], s[6:7]
	v_mul_f64 v[14:15], v[36:37], s[6:7]
	v_mad_u64_u32 v[16:17], null, 0x48, s0, v[10:11]
	v_fma_f32 v0, s12, v5, -v0
	v_fmac_f32_e32 v1, s14, v6
	v_fma_f32 v5, s14, v7, -v4
	v_mul_f64 v[18:19], v[34:35], s[6:7]
	v_cvt_f32_f64_e32 v9, v[2:3]
	v_cvt_f64_f32_e32 v[20:21], v0
	v_cvt_f64_f32_e32 v[22:23], v1
	;; [unrolled: 1-line block ×3, first 2 shown]
	v_mov_b32_e32 v4, v17
	ds_read2_b64 v[0:3], v27 offset0:12 offset1:13
	v_mad_u64_u32 v[43:44], null, 0x60, s0, v[10:11]
	s_lshl_b64 s[2:3], s[0:1], 6
	v_mad_u64_u32 v[28:29], null, 0x48, s1, v[4:5]
	ds_read2_b64 v[4:7], v27 offset0:14 offset1:15
	v_mad_u64_u32 v[29:30], null, 0x50, s0, v[10:11]
	v_cvt_f32_f64_e32 v12, v[12:13]
	v_cvt_f32_f64_e32 v13, v[14:15]
	ds_read_b64 v[26:27], v27 offset:128
	v_mov_b32_e32 v17, v28
	v_add_co_u32 v31, vcc_lo, v10, s2
	v_mov_b32_e32 v14, v30
	v_cvt_f32_f64_e32 v18, v[18:19]
	v_add_co_ci_u32_e32 v32, vcc_lo, s3, v11, vcc_lo
	v_mul_f64 v[19:20], v[20:21], s[6:7]
	v_mad_u64_u32 v[14:15], null, 0x50, s1, v[14:15]
	v_mul_f64 v[21:22], v[22:23], s[6:7]
	s_waitcnt lgkmcnt(2)
	v_mul_f32_e32 v15, s17, v1
	v_mul_f64 v[23:24], v[24:25], s[6:7]
	v_mul_f32_e32 v25, s19, v3
	v_mul_f32_e32 v28, s17, v0
	;; [unrolled: 1-line block ×3, first 2 shown]
	v_fmac_f32_e32 v15, s16, v0
	s_waitcnt lgkmcnt(1)
	v_mul_f32_e32 v37, s21, v5
	v_fmac_f32_e32 v25, s18, v2
	v_fma_f32 v28, s16, v1, -v28
	v_cvt_f64_f32_e32 v[0:1], v15
	v_fma_f32 v15, s18, v3, -v30
	v_fmac_f32_e32 v37, s20, v4
	v_cvt_f64_f32_e32 v[2:3], v25
	v_mul_f32_e32 v4, s21, v4
	v_mul_f32_e32 v25, s23, v7
	v_cvt_f64_f32_e32 v[35:36], v15
	v_mul_f32_e32 v15, s23, v6
	v_cvt_f64_f32_e32 v[37:38], v37
	v_fma_f32 v4, s20, v5, -v4
	v_fmac_f32_e32 v25, s22, v6
	v_cvt_f64_f32_e32 v[33:34], v28
	v_fma_f32 v15, s22, v7, -v15
	s_waitcnt lgkmcnt(0)
	v_mul_f32_e32 v30, s37, v27
	v_cvt_f64_f32_e32 v[4:5], v4
	v_cvt_f64_f32_e32 v[6:7], v25
	v_mul_f32_e32 v28, s37, v26
	v_cvt_f32_f64_e32 v19, v[19:20]
	v_fmac_f32_e32 v30, s36, v26
	v_cvt_f64_f32_e32 v[25:26], v15
	v_cvt_f32_f64_e32 v20, v[21:22]
	v_fma_f32 v41, s36, v27, -v28
	v_cvt_f32_f64_e32 v21, v[23:24]
	v_cvt_f64_f32_e32 v[39:40], v30
	v_mul_f64 v[0:1], v[0:1], s[6:7]
	v_mul_f64 v[2:3], v[2:3], s[6:7]
	v_cvt_f64_f32_e32 v[41:42], v41
	v_mad_u64_u32 v[27:28], null, 0x58, s0, v[10:11]
	v_mul_f64 v[35:36], v[35:36], s[6:7]
	v_mul_f64 v[22:23], v[37:38], s[6:7]
	v_mov_b32_e32 v30, v14
	v_mad_u64_u32 v[37:38], null, 0x68, s0, v[10:11]
	v_mul_f64 v[33:34], v[33:34], s[6:7]
	v_mov_b32_e32 v14, v28
	v_mul_f64 v[4:5], v[4:5], s[6:7]
	v_mul_f64 v[6:7], v[6:7], s[6:7]
	v_mad_u64_u32 v[14:15], null, 0x58, s1, v[14:15]
	v_mul_f64 v[24:25], v[25:26], s[6:7]
	v_mov_b32_e32 v15, v44
	v_mul_f64 v[39:40], v[39:40], s[6:7]
	v_cvt_f32_f64_e32 v0, v[0:1]
	v_cvt_f32_f64_e32 v2, v[2:3]
	v_mul_f64 v[41:42], v[41:42], s[6:7]
	v_mov_b32_e32 v28, v14
	v_mad_u64_u32 v[14:15], null, 0x60, s1, v[15:16]
	v_cvt_f32_f64_e32 v22, v[22:23]
	v_cvt_f32_f64_e32 v3, v[35:36]
	v_mad_u64_u32 v[35:36], null, 0x78, s0, v[10:11]
	v_cvt_f32_f64_e32 v1, v[33:34]
	v_mad_u64_u32 v[33:34], null, 0x70, s0, v[10:11]
	v_cvt_f32_f64_e32 v23, v[4:5]
	v_cvt_f32_f64_e32 v5, v[6:7]
	v_mov_b32_e32 v15, v38
	v_mov_b32_e32 v7, v36
	;; [unrolled: 1-line block ×3, first 2 shown]
	v_cvt_f32_f64_e32 v6, v[24:25]
	v_mov_b32_e32 v4, v34
	v_mad_u64_u32 v[45:46], null, 0x68, s1, v[15:16]
	v_cvt_f32_f64_e32 v24, v[39:40]
	global_store_dwordx2 v[31:32], v[8:9], off
	global_store_dwordx2 v[16:17], v[12:13], off
	;; [unrolled: 1-line block ×4, first 2 shown]
	v_cvt_f32_f64_e32 v25, v[41:42]
	v_mov_b32_e32 v38, v45
	v_mad_u64_u32 v[39:40], null, 0x70, s1, v[4:5]
	v_mad_u64_u32 v[40:41], null, 0x78, s1, v[7:8]
	s_lshl_b64 s[0:1], s[0:1], 7
	v_add_co_u32 v7, vcc_lo, v10, s0
	v_mov_b32_e32 v34, v39
	v_add_co_ci_u32_e32 v8, vcc_lo, s1, v11, vcc_lo
	v_mov_b32_e32 v36, v40
	global_store_dwordx2 v[43:44], v[0:1], off
	global_store_dwordx2 v[37:38], v[2:3], off
	;; [unrolled: 1-line block ×5, first 2 shown]
.LBB0_2:
	s_endpgm
	.section	.rodata,"a",@progbits
	.p2align	6, 0x0
	.amdhsa_kernel bluestein_single_fwd_len17_dim1_sp_op_CI_CI
		.amdhsa_group_segment_fixed_size 16320
		.amdhsa_private_segment_fixed_size 0
		.amdhsa_kernarg_size 104
		.amdhsa_user_sgpr_count 6
		.amdhsa_user_sgpr_private_segment_buffer 1
		.amdhsa_user_sgpr_dispatch_ptr 0
		.amdhsa_user_sgpr_queue_ptr 0
		.amdhsa_user_sgpr_kernarg_segment_ptr 1
		.amdhsa_user_sgpr_dispatch_id 0
		.amdhsa_user_sgpr_flat_scratch_init 0
		.amdhsa_user_sgpr_private_segment_size 0
		.amdhsa_wavefront_size32 1
		.amdhsa_uses_dynamic_stack 0
		.amdhsa_system_sgpr_private_segment_wavefront_offset 0
		.amdhsa_system_sgpr_workgroup_id_x 1
		.amdhsa_system_sgpr_workgroup_id_y 0
		.amdhsa_system_sgpr_workgroup_id_z 0
		.amdhsa_system_sgpr_workgroup_info 0
		.amdhsa_system_vgpr_workitem_id 0
		.amdhsa_next_free_vgpr 122
		.amdhsa_next_free_sgpr 84
		.amdhsa_reserve_vcc 1
		.amdhsa_reserve_flat_scratch 0
		.amdhsa_float_round_mode_32 0
		.amdhsa_float_round_mode_16_64 0
		.amdhsa_float_denorm_mode_32 3
		.amdhsa_float_denorm_mode_16_64 3
		.amdhsa_dx10_clamp 1
		.amdhsa_ieee_mode 1
		.amdhsa_fp16_overflow 0
		.amdhsa_workgroup_processor_mode 1
		.amdhsa_memory_ordered 1
		.amdhsa_forward_progress 0
		.amdhsa_shared_vgpr_count 0
		.amdhsa_exception_fp_ieee_invalid_op 0
		.amdhsa_exception_fp_denorm_src 0
		.amdhsa_exception_fp_ieee_div_zero 0
		.amdhsa_exception_fp_ieee_overflow 0
		.amdhsa_exception_fp_ieee_underflow 0
		.amdhsa_exception_fp_ieee_inexact 0
		.amdhsa_exception_int_div_zero 0
	.end_amdhsa_kernel
	.text
.Lfunc_end0:
	.size	bluestein_single_fwd_len17_dim1_sp_op_CI_CI, .Lfunc_end0-bluestein_single_fwd_len17_dim1_sp_op_CI_CI
                                        ; -- End function
	.section	.AMDGPU.csdata,"",@progbits
; Kernel info:
; codeLenInByte = 13228
; NumSgprs: 86
; NumVgprs: 122
; ScratchSize: 0
; MemoryBound: 0
; FloatMode: 240
; IeeeMode: 1
; LDSByteSize: 16320 bytes/workgroup (compile time only)
; SGPRBlocks: 10
; VGPRBlocks: 15
; NumSGPRsForWavesPerEU: 86
; NumVGPRsForWavesPerEU: 122
; Occupancy: 8
; WaveLimiterHint : 1
; COMPUTE_PGM_RSRC2:SCRATCH_EN: 0
; COMPUTE_PGM_RSRC2:USER_SGPR: 6
; COMPUTE_PGM_RSRC2:TRAP_HANDLER: 0
; COMPUTE_PGM_RSRC2:TGID_X_EN: 1
; COMPUTE_PGM_RSRC2:TGID_Y_EN: 0
; COMPUTE_PGM_RSRC2:TGID_Z_EN: 0
; COMPUTE_PGM_RSRC2:TIDIG_COMP_CNT: 0
	.text
	.p2alignl 6, 3214868480
	.fill 48, 4, 3214868480
	.type	__hip_cuid_8616e70987bf0912,@object ; @__hip_cuid_8616e70987bf0912
	.section	.bss,"aw",@nobits
	.globl	__hip_cuid_8616e70987bf0912
__hip_cuid_8616e70987bf0912:
	.byte	0                               ; 0x0
	.size	__hip_cuid_8616e70987bf0912, 1

	.ident	"AMD clang version 19.0.0git (https://github.com/RadeonOpenCompute/llvm-project roc-6.4.0 25133 c7fe45cf4b819c5991fe208aaa96edf142730f1d)"
	.section	".note.GNU-stack","",@progbits
	.addrsig
	.addrsig_sym __hip_cuid_8616e70987bf0912
	.amdgpu_metadata
---
amdhsa.kernels:
  - .args:
      - .actual_access:  read_only
        .address_space:  global
        .offset:         0
        .size:           8
        .value_kind:     global_buffer
      - .actual_access:  read_only
        .address_space:  global
        .offset:         8
        .size:           8
        .value_kind:     global_buffer
      - .actual_access:  read_only
        .address_space:  global
        .offset:         16
        .size:           8
        .value_kind:     global_buffer
      - .actual_access:  read_only
        .address_space:  global
        .offset:         24
        .size:           8
        .value_kind:     global_buffer
      - .actual_access:  read_only
        .address_space:  global
        .offset:         32
        .size:           8
        .value_kind:     global_buffer
      - .offset:         40
        .size:           8
        .value_kind:     by_value
      - .address_space:  global
        .offset:         48
        .size:           8
        .value_kind:     global_buffer
      - .address_space:  global
        .offset:         56
        .size:           8
        .value_kind:     global_buffer
      - .address_space:  global
        .offset:         64
        .size:           8
        .value_kind:     global_buffer
      - .address_space:  global
        .offset:         72
        .size:           8
        .value_kind:     global_buffer
      - .offset:         80
        .size:           4
        .value_kind:     by_value
      - .address_space:  global
        .offset:         88
        .size:           8
        .value_kind:     global_buffer
      - .address_space:  global
        .offset:         96
        .size:           8
        .value_kind:     global_buffer
    .group_segment_fixed_size: 16320
    .kernarg_segment_align: 8
    .kernarg_segment_size: 104
    .language:       OpenCL C
    .language_version:
      - 2
      - 0
    .max_flat_workgroup_size: 120
    .name:           bluestein_single_fwd_len17_dim1_sp_op_CI_CI
    .private_segment_fixed_size: 0
    .sgpr_count:     86
    .sgpr_spill_count: 0
    .symbol:         bluestein_single_fwd_len17_dim1_sp_op_CI_CI.kd
    .uniform_work_group_size: 1
    .uses_dynamic_stack: false
    .vgpr_count:     122
    .vgpr_spill_count: 0
    .wavefront_size: 32
    .workgroup_processor_mode: 1
amdhsa.target:   amdgcn-amd-amdhsa--gfx1030
amdhsa.version:
  - 1
  - 2
...

	.end_amdgpu_metadata
